;; amdgpu-corpus repo=zjin-lcf/HeCBench kind=compiled arch=gfx950 opt=O3
	.amdgcn_target "amdgcn-amd-amdhsa--gfx950"
	.amdhsa_code_object_version 6
	.text
	.p2align	2                               ; -- Begin function _Z13ht_get_atomicP6loc_ht9cstr_typej
	.type	_Z13ht_get_atomicP6loc_ht9cstr_typej,@function
_Z13ht_get_atomicP6loc_ht9cstr_typej:   ; @_Z13ht_get_atomicP6loc_ht9cstr_typej
; %bb.0:
	s_waitcnt vmcnt(0) expcnt(0) lgkmcnt(0)
	v_and_b32_e32 v10, 3, v2
	v_cmp_eq_u32_e64 s[0:1], 0, v10
	v_cmp_gt_i32_e64 s[2:3], 4, v4
	v_mov_b32_e32 v6, v5
	v_xor_b32_e32 v5, 0x3fb0bb5f, v4
	v_cmp_lt_i32_e32 vcc, 3, v4
	s_or_b64 s[0:1], s[0:1], s[2:3]
	s_and_saveexec_b64 s[2:3], s[0:1]
	s_xor_b64 s[0:1], exec, s[2:3]
	s_cbranch_execz .LBB0_10
; %bb.1:
	v_mov_b32_e32 v7, v4
	v_mov_b64_e32 v[8:9], v[2:3]
	s_and_saveexec_b64 s[2:3], vcc
	s_cbranch_execz .LBB0_5
; %bb.2:
	s_mov_b64 s[4:5], 0
	s_mov_b32 s6, 0x5bd1e995
	v_mov_b32_e32 v7, v4
	v_mov_b64_e32 v[8:9], v[2:3]
.LBB0_3:                                ; =>This Inner Loop Header: Depth=1
	flat_load_dword v10, v[8:9]
	v_mov_b32_e32 v11, v7
	v_mul_lo_u32 v5, v5, s6
	v_cmp_gt_u32_e32 vcc, 8, v11
	v_lshl_add_u64 v[8:9], v[8:9], 0, 4
	v_add_u32_e32 v7, -4, v11
	s_or_b64 s[4:5], vcc, s[4:5]
	s_waitcnt vmcnt(0) lgkmcnt(0)
	v_mul_lo_u32 v10, v10, s6
	v_xor_b32_sdwa v10, v10, v10 dst_sel:DWORD dst_unused:UNUSED_PAD src0_sel:BYTE_3 src1_sel:DWORD
	v_mul_lo_u32 v10, v10, s6
	v_xor_b32_e32 v5, v10, v5
	s_andn2_b64 exec, exec, s[4:5]
	s_cbranch_execnz .LBB0_3
; %bb.4:
	s_or_b64 exec, exec, s[4:5]
.LBB0_5:
	s_or_b64 exec, exec, s[2:3]
	v_cmp_lt_i32_e32 vcc, 1, v7
	s_mov_b64 s[2:3], 0
                                        ; implicit-def: $vgpr10
	s_and_saveexec_b64 s[4:5], vcc
	s_xor_b64 s[4:5], exec, s[4:5]
	s_cbranch_execnz .LBB0_483
; %bb.6:
	s_andn2_saveexec_b64 s[4:5], s[4:5]
	s_cbranch_execnz .LBB0_486
.LBB0_7:
	s_or_b64 exec, exec, s[4:5]
	s_and_saveexec_b64 s[4:5], s[2:3]
	s_cbranch_execz .LBB0_9
.LBB0_8:
	flat_load_ubyte v5, v[8:9]
	s_mov_b32 s2, 0x5bd1e995
	s_waitcnt vmcnt(0) lgkmcnt(0)
	v_xor_b32_e32 v5, v10, v5
	v_mul_lo_u32 v5, v5, s2
.LBB0_9:
	s_or_b64 exec, exec, s[4:5]
                                        ; implicit-def: $vgpr10
.LBB0_10:
	s_andn2_saveexec_b64 s[0:1], s[0:1]
	s_cbranch_execz .LBB0_36
; %bb.11:
	v_cmp_gt_i32_e32 vcc, 3, v10
	v_mov_b32_e32 v12, 0
	s_and_saveexec_b64 s[2:3], vcc
	s_cbranch_execz .LBB0_15
; %bb.12:
	v_cmp_ne_u32_e32 vcc, 2, v10
	v_mov_b32_e32 v7, 0
	s_and_saveexec_b64 s[4:5], vcc
	s_cbranch_execz .LBB0_14
; %bb.13:
	flat_load_ubyte v7, v[2:3] offset:2
	s_waitcnt vmcnt(0) lgkmcnt(0)
	v_lshlrev_b32_e32 v7, 16, v7
.LBB0_14:
	s_or_b64 exec, exec, s[4:5]
	flat_load_ubyte v8, v[2:3] offset:1
	s_waitcnt vmcnt(0) lgkmcnt(0)
	v_lshl_or_b32 v12, v8, 8, v7
.LBB0_15:
	s_or_b64 exec, exec, s[2:3]
	flat_load_ubyte v16, v[2:3]
	v_sub_u32_e32 v14, 4, v10
	v_lshlrev_b32_e32 v11, 3, v10
	v_mov_b32_e32 v15, 0
	v_sub_u32_e32 v13, v4, v14
	v_lshl_add_u64 v[8:9], v[2:3], 0, v[14:15]
	v_lshlrev_b32_e32 v7, 3, v14
	v_cmp_lt_u32_e32 vcc, 3, v13
	s_waitcnt vmcnt(0) lgkmcnt(0)
	v_or_b32_e32 v12, v12, v16
	v_lshlrev_b32_e32 v12, v11, v12
	s_and_saveexec_b64 s[2:3], vcc
	s_cbranch_execz .LBB0_19
; %bb.16:
	v_add_u32_e32 v13, v4, v10
	s_mov_b64 s[4:5], 0
	s_mov_b32 s6, 0x5bd1e995
.LBB0_17:                               ; =>This Inner Loop Header: Depth=1
	flat_load_dword v14, v[8:9]
	v_lshrrev_b32_e32 v12, v11, v12
	v_mov_b32_e32 v15, v13
	v_add_u32_e32 v13, -4, v15
	v_mul_lo_u32 v5, v5, s6
	v_cmp_gt_u32_e32 vcc, 8, v13
	v_lshl_add_u64 v[8:9], v[8:9], 0, 4
	s_or_b64 s[4:5], vcc, s[4:5]
	s_waitcnt vmcnt(0) lgkmcnt(0)
	v_lshl_or_b32 v16, v14, v7, v12
	v_mul_lo_u32 v16, v16, s6
	v_xor_b32_sdwa v16, v16, v16 dst_sel:DWORD dst_unused:UNUSED_PAD src0_sel:BYTE_3 src1_sel:DWORD
	v_mul_lo_u32 v16, v16, s6
	v_mov_b32_e32 v12, v14
	v_xor_b32_e32 v5, v16, v5
	s_andn2_b64 exec, exec, s[4:5]
	s_cbranch_execnz .LBB0_17
; %bb.18:
	s_or_b64 exec, exec, s[4:5]
	v_add_u32_e32 v13, -8, v15
	v_mov_b32_e32 v12, v14
.LBB0_19:
	s_or_b64 exec, exec, s[2:3]
	v_cmp_ge_u32_e32 vcc, v13, v10
	s_and_saveexec_b64 s[2:3], vcc
	s_xor_b64 s[2:3], exec, s[2:3]
	s_cbranch_execz .LBB0_29
; %bb.20:
	v_cmp_lt_i32_e32 vcc, 2, v10
	s_mov_b64 s[4:5], 0
                                        ; implicit-def: $vgpr14
	s_and_saveexec_b64 s[6:7], vcc
	s_xor_b64 s[6:7], exec, s[6:7]
	s_cbranch_execnz .LBB0_487
; %bb.21:
	s_andn2_saveexec_b64 s[6:7], s[6:7]
	s_cbranch_execnz .LBB0_488
.LBB0_22:
	s_or_b64 exec, exec, s[6:7]
	v_mov_b32_e32 v15, 0
	s_and_saveexec_b64 s[6:7], s[4:5]
	s_cbranch_execz .LBB0_24
.LBB0_23:
	flat_load_ubyte v15, v[8:9] offset:1
	s_waitcnt vmcnt(0) lgkmcnt(0)
	v_lshl_or_b32 v15, v15, 8, v14
.LBB0_24:
	s_or_b64 exec, exec, s[6:7]
	flat_load_ubyte v14, v[8:9]
	v_lshrrev_b32_e32 v11, v11, v12
	s_mov_b32 s4, 0x5bd1e995
	v_and_b32_e32 v16, 3, v2
	v_mov_b32_e32 v17, 0
	v_sub_u32_e32 v10, v13, v10
	v_mul_lo_u32 v5, v5, s4
	v_lshl_add_u64 v[8:9], v[8:9], 0, v[16:17]
	v_cmp_lt_i32_e32 vcc, 1, v10
	s_waitcnt vmcnt(0) lgkmcnt(0)
	v_or_b32_e32 v12, v15, v14
	v_lshl_or_b32 v7, v12, v7, v11
	v_mul_lo_u32 v7, v7, s4
	v_xor_b32_sdwa v7, v7, v7 dst_sel:DWORD dst_unused:UNUSED_PAD src0_sel:BYTE_3 src1_sel:DWORD
	v_mul_lo_u32 v7, v7, s4
	v_xor_b32_e32 v5, v7, v5
	s_mov_b64 s[4:5], 0
                                        ; implicit-def: $vgpr7
	s_and_saveexec_b64 s[6:7], vcc
	s_xor_b64 s[6:7], exec, s[6:7]
	s_cbranch_execnz .LBB0_489
; %bb.25:
	s_andn2_saveexec_b64 s[6:7], s[6:7]
	s_cbranch_execnz .LBB0_490
.LBB0_26:
	s_or_b64 exec, exec, s[6:7]
	s_and_saveexec_b64 s[6:7], s[4:5]
	s_cbranch_execz .LBB0_28
.LBB0_27:
	flat_load_ubyte v5, v[8:9]
	s_mov_b32 s4, 0x5bd1e995
	s_waitcnt vmcnt(0) lgkmcnt(0)
	v_xor_b32_e32 v5, v7, v5
	v_mul_lo_u32 v5, v5, s4
.LBB0_28:
	s_or_b64 exec, exec, s[6:7]
                                        ; implicit-def: $vgpr13
                                        ; implicit-def: $vgpr11
                                        ; implicit-def: $vgpr12
                                        ; implicit-def: $vgpr7
                                        ; implicit-def: $vgpr8_vgpr9
.LBB0_29:
	s_andn2_saveexec_b64 s[2:3], s[2:3]
	s_cbranch_execz .LBB0_35
; %bb.30:
	v_cmp_lt_i32_e32 vcc, 1, v13
	s_mov_b64 s[4:5], 0
                                        ; implicit-def: $vgpr10
	s_and_saveexec_b64 s[6:7], vcc
	s_xor_b64 s[6:7], exec, s[6:7]
	s_cbranch_execnz .LBB0_491
; %bb.31:
	s_andn2_saveexec_b64 s[6:7], s[6:7]
	s_cbranch_execnz .LBB0_492
.LBB0_32:
	s_or_b64 exec, exec, s[6:7]
	s_and_saveexec_b64 s[6:7], s[4:5]
	s_cbranch_execz .LBB0_34
.LBB0_33:
	flat_load_ubyte v8, v[8:9]
	s_waitcnt vmcnt(0) lgkmcnt(0)
	v_or_b32_e32 v13, v10, v8
.LBB0_34:
	s_or_b64 exec, exec, s[6:7]
	v_lshrrev_b32_e32 v8, v11, v12
	v_lshlrev_b32_e32 v7, v7, v13
	v_bitop3_b32 v5, v7, v5, v8 bitop3:0x36
	s_mov_b32 s4, 0x5bd1e995
	v_mul_lo_u32 v5, v5, s4
.LBB0_35:
	s_or_b64 exec, exec, s[2:3]
.LBB0_36:
	s_or_b64 exec, exec, s[0:1]
	v_cvt_f32_u32_e32 v7, v6
	v_lshrrev_b32_e32 v8, 13, v5
	s_mov_b32 s0, 0x5bd1e995
	v_xor_b32_e32 v5, v8, v5
	v_rcp_iflag_f32_e32 v7, v7
	v_mul_lo_u32 v5, v5, s0
	v_sub_u32_e32 v9, 0, v6
	v_lshrrev_b32_e32 v8, 15, v5
	v_mul_f32_e32 v7, 0x4f7ffffe, v7
	v_cvt_u32_f32_e32 v7, v7
	v_xor_b32_e32 v5, v8, v5
	s_getpc_b64 s[6:7]
	s_add_u32 s6, s6, .str.2@rel32@lo+4
	s_addc_u32 s7, s7, .str.2@rel32@hi+12
	s_cmp_lg_u64 s[6:7], 0
	v_mul_lo_u32 v8, v9, v7
	v_mul_hi_u32 v8, v7, v8
	v_add_u32_e32 v7, v7, v8
	v_mul_hi_u32 v7, v5, v7
	v_mul_lo_u32 v7, v7, v6
	v_sub_u32_e32 v5, v5, v7
	v_sub_u32_e32 v7, v5, v6
	v_cmp_ge_u32_e32 vcc, v5, v6
	v_mov_b32_e32 v11, 0
	v_mbcnt_lo_u32_b32 v8, -1, 0
	v_cndmask_b32_e32 v5, v5, v7, vcc
	v_sub_u32_e32 v7, v5, v6
	v_cmp_ge_u32_e32 vcc, v5, v6
	s_mov_b32 s4, 0
	v_cmp_lt_i32_e64 s[0:1], 0, v4
	v_cndmask_b32_e32 v7, v5, v7, vcc
	s_mov_b64 s[2:3], 0
	s_cselect_b64 s[10:11], -1, 0
	v_mov_b32_e32 v5, -1
	s_movk_i32 s40, 0xff1d
	v_mbcnt_hi_u32_b32 v52, -1, v8
	v_mov_b32_e32 v14, 2
	v_mov_b32_e32 v15, 1
	;; [unrolled: 1-line block ×7, first 2 shown]
                                        ; implicit-def: $vgpr54
	s_branch .LBB0_39
.LBB0_37:                               ;   in Loop: Header=BB0_39 Depth=1
                                        ; implicit-def: $sgpr6_sgpr7
                                        ; implicit-def: $vgpr54
                                        ; implicit-def: $vgpr10
	s_mov_b64 s[14:15], -1
.LBB0_38:                               ;   in Loop: Header=BB0_39 Depth=1
	s_andn2_b64 s[2:3], s[2:3], exec
	s_and_b64 s[6:7], s[6:7], exec
	s_and_b64 vcc, exec, s[14:15]
	s_or_b64 s[2:3], s[2:3], s[6:7]
	s_cbranch_vccnz .LBB0_482
.LBB0_39:                               ; =>This Loop Header: Depth=1
                                        ;     Child Loop BB0_48 Depth 2
                                        ;     Child Loop BB0_60 Depth 2
	;; [unrolled: 1-line block ×10, first 2 shown]
                                        ;       Child Loop BB0_89 Depth 3
                                        ;       Child Loop BB0_97 Depth 3
	;; [unrolled: 1-line block ×11, first 2 shown]
                                        ;     Child Loop BB0_200 Depth 2
                                        ;     Child Loop BB0_208 Depth 2
	;; [unrolled: 1-line block ×9, first 2 shown]
                                        ;       Child Loop BB0_229 Depth 3
                                        ;       Child Loop BB0_237 Depth 3
	;; [unrolled: 1-line block ×11, first 2 shown]
                                        ;     Child Loop BB0_340 Depth 2
                                        ;     Child Loop BB0_348 Depth 2
                                        ;     Child Loop BB0_357 Depth 2
                                        ;     Child Loop BB0_362 Depth 2
                                        ;     Child Loop BB0_453 Depth 2
                                        ;     Child Loop BB0_461 Depth 2
                                        ;     Child Loop BB0_470 Depth 2
                                        ;     Child Loop BB0_475 Depth 2
                                        ;     Child Loop BB0_366 Depth 2
                                        ;       Child Loop BB0_369 Depth 3
                                        ;       Child Loop BB0_377 Depth 3
	;; [unrolled: 1-line block ×11, first 2 shown]
	s_waitcnt vmcnt(0)
	v_cndmask_b32_e64 v8, 0, 1, s[2:3]
	v_cmp_ne_u32_e32 vcc, 0, v8
	s_cmp_eq_u64 vcc, exec
	v_mov_b32_e32 v53, v10
	s_cbranch_scc1 .LBB0_37
; %bb.40:                               ;   in Loop: Header=BB0_39 Depth=1
	s_xor_b64 s[2:3], s[2:3], -1
	s_and_saveexec_b64 s[12:13], s[2:3]
	s_cbranch_execz .LBB0_44
; %bb.41:                               ;   in Loop: Header=BB0_39 Depth=1
	v_mad_u64_u32 v[8:9], s[6:7], v10, 56, v[0:1]
	flat_atomic_cmpswap v54, v[8:9], v[4:5] offset:8 sc0
	s_waitcnt vmcnt(0) lgkmcnt(0)
	v_cmp_eq_u32_e32 vcc, -1, v54
	s_and_saveexec_b64 s[14:15], vcc
	s_cbranch_execz .LBB0_43
; %bb.42:                               ;   in Loop: Header=BB0_39 Depth=1
	s_mov_b32 s6, s4
	s_mov_b32 s7, s4
	;; [unrolled: 1-line block ×3, first 2 shown]
	v_mov_b64_e32 v[22:23], s[6:7]
	v_mov_b64_e32 v[20:21], s[4:5]
	v_mov_b32_e32 v54, -1
	flat_store_dwordx2 v[8:9], v[2:3]
	flat_store_dwordx4 v[8:9], v[20:23] offset:16
	flat_store_dwordx4 v[8:9], v[20:23] offset:32
	;; [unrolled: 1-line block ×3, first 2 shown]
.LBB0_43:                               ;   in Loop: Header=BB0_39 Depth=1
	s_or_b64 exec, exec, s[14:15]
.LBB0_44:                               ;   in Loop: Header=BB0_39 Depth=1
	s_or_b64 exec, exec, s[12:13]
	v_cmp_ne_u32_e32 vcc, -1, v54
	s_mov_b64 s[6:7], -1
	s_and_b64 s[14:15], s[2:3], vcc
	s_mov_b64 s[12:13], 0
	s_and_saveexec_b64 s[2:3], s[14:15]
	s_cbranch_execz .LBB0_54
; %bb.45:                               ;   in Loop: Header=BB0_39 Depth=1
	v_mad_u64_u32 v[8:9], s[6:7], v10, 56, v[0:1]
	flat_load_dword v20, v[8:9] offset:8
	s_mov_b64 s[12:13], -1
	s_waitcnt vmcnt(0) lgkmcnt(0)
	v_cmp_ne_u32_e32 vcc, -1, v20
	s_and_b64 s[14:15], vcc, s[0:1]
	s_and_saveexec_b64 s[6:7], s[14:15]
	s_cbranch_execz .LBB0_51
; %bb.46:                               ;   in Loop: Header=BB0_39 Depth=1
	flat_load_dwordx2 v[8:9], v[8:9]
	s_mov_b64 s[12:13], 0
	v_mov_b64_e32 v[12:13], v[2:3]
	v_mov_b32_e32 v21, v4
                                        ; implicit-def: $sgpr14_sgpr15
                                        ; implicit-def: $sgpr18_sgpr19
                                        ; implicit-def: $sgpr16_sgpr17
	s_branch .LBB0_48
.LBB0_47:                               ;   in Loop: Header=BB0_48 Depth=2
	s_or_b64 exec, exec, s[20:21]
	s_xor_b64 s[20:21], s[16:17], -1
	s_and_b64 s[22:23], exec, s[18:19]
	s_or_b64 s[12:13], s[22:23], s[12:13]
	s_andn2_b64 s[14:15], s[14:15], exec
	s_and_b64 s[20:21], s[20:21], exec
	s_or_b64 s[14:15], s[14:15], s[20:21]
	s_andn2_b64 exec, exec, s[12:13]
	s_cbranch_execz .LBB0_50
.LBB0_48:                               ;   Parent Loop BB0_39 Depth=1
                                        ; =>  This Inner Loop Header: Depth=2
	s_waitcnt vmcnt(0) lgkmcnt(0)
	flat_load_ubyte v22, v[8:9]
	flat_load_ubyte v23, v[12:13]
	s_or_b64 s[16:17], s[16:17], exec
	s_or_b64 s[18:19], s[18:19], exec
	s_waitcnt vmcnt(0) lgkmcnt(0)
	v_cmp_eq_u16_e32 vcc, v22, v23
	s_and_saveexec_b64 s[20:21], vcc
	s_cbranch_execz .LBB0_47
; %bb.49:                               ;   in Loop: Header=BB0_48 Depth=2
	v_add_u32_e32 v21, -1, v21
	v_cmp_eq_u32_e32 vcc, 0, v21
	s_andn2_b64 s[18:19], s[18:19], exec
	s_and_b64 s[22:23], vcc, exec
	v_lshl_add_u64 v[12:13], v[12:13], 0, 1
	v_lshl_add_u64 v[8:9], v[8:9], 0, 1
	s_andn2_b64 s[16:17], s[16:17], exec
	s_or_b64 s[18:19], s[18:19], s[22:23]
	s_branch .LBB0_47
.LBB0_50:                               ;   in Loop: Header=BB0_39 Depth=1
	s_or_b64 exec, exec, s[12:13]
	s_orn2_b64 s[12:13], s[14:15], exec
.LBB0_51:                               ;   in Loop: Header=BB0_39 Depth=1
	s_or_b64 exec, exec, s[6:7]
	s_mov_b64 s[6:7], 0
	s_and_saveexec_b64 s[14:15], s[12:13]
; %bb.52:                               ;   in Loop: Header=BB0_39 Depth=1
	v_cmp_eq_u32_e32 vcc, v20, v4
	s_and_b64 s[6:7], vcc, exec
; %bb.53:                               ;   in Loop: Header=BB0_39 Depth=1
	s_or_b64 exec, exec, s[14:15]
	s_xor_b64 s[12:13], s[6:7], -1
	s_orn2_b64 s[6:7], s[6:7], exec
	s_and_b64 s[12:13], s[12:13], exec
.LBB0_54:                               ;   in Loop: Header=BB0_39 Depth=1
	s_or_b64 exec, exec, s[2:3]
	v_cndmask_b32_e64 v8, 0, 1, s[6:7]
	v_cmp_ne_u32_e32 vcc, 0, v8
	s_cmp_eq_u64 vcc, exec
	s_mov_b64 s[14:15], -1
                                        ; implicit-def: $sgpr6_sgpr7
	s_cbranch_scc1 .LBB0_481
; %bb.55:                               ;   in Loop: Header=BB0_39 Depth=1
	s_mov_b64 s[6:7], -1
	s_and_saveexec_b64 s[2:3], s[12:13]
	s_xor_b64 s[12:13], exec, s[2:3]
	s_cbranch_execz .LBB0_480
; %bb.56:                               ;   in Loop: Header=BB0_39 Depth=1
	v_add_u32_e32 v8, 1, v10
	v_cmp_ne_u32_e32 vcc, v8, v6
	s_mov_b64 s[2:3], 0
	s_nop 0
	v_cndmask_b32_e32 v10, 0, v8, vcc
	v_cmp_eq_u32_e32 vcc, v10, v7
	s_and_saveexec_b64 s[14:15], vcc
	s_cbranch_execz .LBB0_479
; %bb.57:                               ;   in Loop: Header=BB0_39 Depth=1
	s_load_dwordx2 s[16:17], s[8:9], 0x50
	v_readfirstlane_b32 s2, v52
	v_mov_b64_e32 v[8:9], 0
	s_nop 0
	v_cmp_eq_u32_e64 s[2:3], s2, v52
	s_and_saveexec_b64 s[6:7], s[2:3]
	s_cbranch_execz .LBB0_63
; %bb.58:                               ;   in Loop: Header=BB0_39 Depth=1
	s_waitcnt lgkmcnt(0)
	global_load_dwordx2 v[22:23], v11, s[16:17] offset:24 sc0 sc1
	s_waitcnt vmcnt(0)
	buffer_inv sc0 sc1
	global_load_dwordx2 v[8:9], v11, s[16:17] offset:40
	global_load_dwordx2 v[12:13], v11, s[16:17]
	s_waitcnt vmcnt(1)
	v_and_b32_e32 v8, v8, v22
	v_and_b32_e32 v9, v9, v23
	v_mul_lo_u32 v9, v9, 24
	v_mul_hi_u32 v10, v8, 24
	v_add_u32_e32 v9, v10, v9
	v_mul_lo_u32 v8, v8, 24
	s_waitcnt vmcnt(0)
	v_lshl_add_u64 v[8:9], v[12:13], 0, v[8:9]
	global_load_dwordx2 v[20:21], v[8:9], off sc0 sc1
	s_waitcnt vmcnt(0)
	global_atomic_cmpswap_x2 v[8:9], v11, v[20:23], s[16:17] offset:24 sc0 sc1
	s_waitcnt vmcnt(0)
	buffer_inv sc0 sc1
	v_cmp_ne_u64_e32 vcc, v[8:9], v[22:23]
	s_and_saveexec_b64 s[18:19], vcc
	s_cbranch_execz .LBB0_62
; %bb.59:                               ;   in Loop: Header=BB0_39 Depth=1
	s_mov_b64 s[20:21], 0
.LBB0_60:                               ;   Parent Loop BB0_39 Depth=1
                                        ; =>  This Inner Loop Header: Depth=2
	s_sleep 1
	global_load_dwordx2 v[12:13], v11, s[16:17] offset:40
	global_load_dwordx2 v[20:21], v11, s[16:17]
	v_mov_b64_e32 v[22:23], v[8:9]
	s_waitcnt vmcnt(1)
	v_and_b32_e32 v8, v12, v22
	s_waitcnt vmcnt(0)
	v_mad_u64_u32 v[8:9], s[22:23], v8, 24, v[20:21]
	v_and_b32_e32 v13, v13, v23
	v_mov_b32_e32 v10, v9
	v_mad_u64_u32 v[12:13], s[22:23], v13, 24, v[10:11]
	v_mov_b32_e32 v9, v12
	global_load_dwordx2 v[20:21], v[8:9], off sc0 sc1
	s_waitcnt vmcnt(0)
	global_atomic_cmpswap_x2 v[8:9], v11, v[20:23], s[16:17] offset:24 sc0 sc1
	s_waitcnt vmcnt(0)
	buffer_inv sc0 sc1
	v_cmp_eq_u64_e32 vcc, v[8:9], v[22:23]
	s_or_b64 s[20:21], vcc, s[20:21]
	s_andn2_b64 exec, exec, s[20:21]
	s_cbranch_execnz .LBB0_60
; %bb.61:                               ;   in Loop: Header=BB0_39 Depth=1
	s_or_b64 exec, exec, s[20:21]
.LBB0_62:                               ;   in Loop: Header=BB0_39 Depth=1
	s_or_b64 exec, exec, s[18:19]
.LBB0_63:                               ;   in Loop: Header=BB0_39 Depth=1
	s_or_b64 exec, exec, s[6:7]
	s_waitcnt lgkmcnt(0)
	global_load_dwordx2 v[12:13], v11, s[16:17] offset:40
	global_load_dwordx4 v[20:23], v11, s[16:17]
	v_readfirstlane_b32 s19, v9
	v_readfirstlane_b32 s18, v8
	s_mov_b64 s[6:7], exec
	s_waitcnt vmcnt(0)
	v_readfirstlane_b32 s20, v12
	v_readfirstlane_b32 s21, v13
	s_and_b64 s[20:21], s[20:21], s[18:19]
	s_mul_i32 s5, s21, 24
	s_mul_hi_u32 s22, s20, 24
	s_add_i32 s23, s22, s5
	s_mul_i32 s22, s20, 24
	v_lshl_add_u64 v[8:9], v[20:21], 0, s[22:23]
	s_and_saveexec_b64 s[22:23], s[2:3]
	s_cbranch_execz .LBB0_65
; %bb.64:                               ;   in Loop: Header=BB0_39 Depth=1
	v_mov_b64_e32 v[12:13], s[6:7]
	global_store_dwordx4 v[8:9], v[12:15], off offset:8
.LBB0_65:                               ;   in Loop: Header=BB0_39 Depth=1
	s_or_b64 exec, exec, s[22:23]
	s_lshl_b64 s[6:7], s[20:21], 12
	v_lshl_add_u64 v[12:13], v[22:23], 0, s[6:7]
	s_mov_b32 s6, s4
	s_mov_b32 s7, s4
	;; [unrolled: 1-line block ×3, first 2 shown]
	v_mov_b64_e32 v[24:25], s[6:7]
	v_lshlrev_b32_e32 v48, 6, v52
	v_readfirstlane_b32 s20, v12
	v_readfirstlane_b32 s21, v13
	v_mov_b64_e32 v[22:23], s[4:5]
	s_nop 3
	global_store_dwordx4 v48, v[16:19], s[20:21]
	global_store_dwordx4 v48, v[22:25], s[20:21] offset:16
	global_store_dwordx4 v48, v[22:25], s[20:21] offset:32
	;; [unrolled: 1-line block ×3, first 2 shown]
	s_and_saveexec_b64 s[6:7], s[2:3]
	s_cbranch_execz .LBB0_73
; %bb.66:                               ;   in Loop: Header=BB0_39 Depth=1
	global_load_dwordx2 v[28:29], v11, s[16:17] offset:32 sc0 sc1
	global_load_dwordx2 v[22:23], v11, s[16:17] offset:40
	v_mov_b32_e32 v26, s18
	v_mov_b32_e32 v27, s19
	s_waitcnt vmcnt(0)
	v_and_b32_e32 v10, s18, v22
	v_and_b32_e32 v22, s19, v23
	v_mul_lo_u32 v23, v22, 24
	v_mul_hi_u32 v24, v10, 24
	v_mul_lo_u32 v22, v10, 24
	v_add_u32_e32 v23, v24, v23
	v_lshl_add_u64 v[24:25], v[20:21], 0, v[22:23]
	global_store_dwordx2 v[24:25], v[28:29], off
	buffer_wbl2 sc0 sc1
	s_waitcnt vmcnt(0)
	global_atomic_cmpswap_x2 v[22:23], v11, v[26:29], s[16:17] offset:32 sc0 sc1
	s_waitcnt vmcnt(0)
	v_cmp_ne_u64_e32 vcc, v[22:23], v[28:29]
	s_and_saveexec_b64 s[20:21], vcc
	s_cbranch_execz .LBB0_69
; %bb.67:                               ;   in Loop: Header=BB0_39 Depth=1
	s_mov_b64 s[22:23], 0
.LBB0_68:                               ;   Parent Loop BB0_39 Depth=1
                                        ; =>  This Inner Loop Header: Depth=2
	s_sleep 1
	global_store_dwordx2 v[24:25], v[22:23], off
	v_mov_b32_e32 v20, s18
	v_mov_b32_e32 v21, s19
	buffer_wbl2 sc0 sc1
	s_waitcnt vmcnt(0)
	global_atomic_cmpswap_x2 v[20:21], v11, v[20:23], s[16:17] offset:32 sc0 sc1
	s_waitcnt vmcnt(0)
	v_cmp_eq_u64_e32 vcc, v[20:21], v[22:23]
	s_or_b64 s[22:23], vcc, s[22:23]
	v_mov_b64_e32 v[22:23], v[20:21]
	s_andn2_b64 exec, exec, s[22:23]
	s_cbranch_execnz .LBB0_68
.LBB0_69:                               ;   in Loop: Header=BB0_39 Depth=1
	s_or_b64 exec, exec, s[20:21]
	global_load_dwordx2 v[20:21], v11, s[16:17] offset:16
	s_mov_b64 s[22:23], exec
	v_mbcnt_lo_u32_b32 v10, s22, 0
	v_mbcnt_hi_u32_b32 v10, s23, v10
	v_cmp_eq_u32_e32 vcc, 0, v10
	s_and_saveexec_b64 s[20:21], vcc
	s_cbranch_execz .LBB0_71
; %bb.70:                               ;   in Loop: Header=BB0_39 Depth=1
	s_bcnt1_i32_b64 s5, s[22:23]
	v_mov_b32_e32 v10, s5
	buffer_wbl2 sc0 sc1
	s_waitcnt vmcnt(0)
	global_atomic_add_x2 v[20:21], v[10:11], off offset:8 sc1
.LBB0_71:                               ;   in Loop: Header=BB0_39 Depth=1
	s_or_b64 exec, exec, s[20:21]
	s_waitcnt vmcnt(0)
	global_load_dwordx2 v[22:23], v[20:21], off offset:16
	s_waitcnt vmcnt(0)
	v_cmp_eq_u64_e32 vcc, 0, v[22:23]
	s_cbranch_vccnz .LBB0_73
; %bb.72:                               ;   in Loop: Header=BB0_39 Depth=1
	global_load_dword v10, v[20:21], off offset:24
	s_waitcnt vmcnt(0)
	v_readfirstlane_b32 s5, v10
	s_and_b32 m0, s5, 0xffffff
	buffer_wbl2 sc0 sc1
	global_store_dwordx2 v[22:23], v[10:11], off sc0 sc1
	s_sendmsg sendmsg(MSG_INTERRUPT)
.LBB0_73:                               ;   in Loop: Header=BB0_39 Depth=1
	s_or_b64 exec, exec, s[6:7]
	v_mov_b32_e32 v49, v11
	v_lshl_add_u64 v[12:13], v[12:13], 0, v[48:49]
	s_branch .LBB0_77
.LBB0_74:                               ;   in Loop: Header=BB0_77 Depth=2
	s_or_b64 exec, exec, s[6:7]
	v_readfirstlane_b32 s5, v10
	s_cmp_eq_u32 s5, 0
	s_cbranch_scc1 .LBB0_76
; %bb.75:                               ;   in Loop: Header=BB0_77 Depth=2
	s_sleep 1
	s_cbranch_execnz .LBB0_77
	s_branch .LBB0_79
.LBB0_76:                               ;   in Loop: Header=BB0_39 Depth=1
	s_branch .LBB0_79
.LBB0_77:                               ;   Parent Loop BB0_39 Depth=1
                                        ; =>  This Inner Loop Header: Depth=2
	v_mov_b32_e32 v10, 1
	s_and_saveexec_b64 s[6:7], s[2:3]
	s_cbranch_execz .LBB0_74
; %bb.78:                               ;   in Loop: Header=BB0_77 Depth=2
	global_load_dword v10, v[8:9], off offset:20 sc0 sc1
	s_waitcnt vmcnt(0)
	buffer_inv sc0 sc1
	v_and_b32_e32 v10, 1, v10
	s_branch .LBB0_74
.LBB0_79:                               ;   in Loop: Header=BB0_39 Depth=1
	global_load_dwordx2 v[8:9], v[12:13], off
	s_and_saveexec_b64 s[6:7], s[2:3]
	s_cbranch_execz .LBB0_83
; %bb.80:                               ;   in Loop: Header=BB0_39 Depth=1
	global_load_dwordx2 v[12:13], v11, s[16:17] offset:40
	global_load_dwordx2 v[24:25], v11, s[16:17] offset:24 sc0 sc1
	global_load_dwordx2 v[20:21], v11, s[16:17]
	s_waitcnt vmcnt(2)
	v_readfirstlane_b32 s20, v12
	v_readfirstlane_b32 s21, v13
	s_add_u32 s5, s20, 1
	s_addc_u32 s22, s21, 0
	s_add_u32 s2, s5, s18
	s_addc_u32 s3, s22, s19
	s_cmp_eq_u64 s[2:3], 0
	s_cselect_b32 s3, s22, s3
	s_cselect_b32 s2, s5, s2
	s_and_b64 s[18:19], s[2:3], s[20:21]
	s_mul_i32 s5, s19, 24
	s_mul_hi_u32 s19, s18, 24
	s_mul_i32 s18, s18, 24
	s_add_i32 s19, s19, s5
	s_waitcnt vmcnt(0)
	v_lshl_add_u64 v[12:13], v[20:21], 0, s[18:19]
	v_mov_b32_e32 v22, s2
	global_store_dwordx2 v[12:13], v[24:25], off
	v_mov_b32_e32 v23, s3
	buffer_wbl2 sc0 sc1
	s_waitcnt vmcnt(0)
	global_atomic_cmpswap_x2 v[22:23], v11, v[22:25], s[16:17] offset:24 sc0 sc1
	s_waitcnt vmcnt(0)
	v_cmp_ne_u64_e32 vcc, v[22:23], v[24:25]
	s_and_b64 exec, exec, vcc
	s_cbranch_execz .LBB0_83
; %bb.81:                               ;   in Loop: Header=BB0_39 Depth=1
	s_mov_b64 s[18:19], 0
.LBB0_82:                               ;   Parent Loop BB0_39 Depth=1
                                        ; =>  This Inner Loop Header: Depth=2
	s_sleep 1
	global_store_dwordx2 v[12:13], v[22:23], off
	v_mov_b32_e32 v20, s2
	v_mov_b32_e32 v21, s3
	buffer_wbl2 sc0 sc1
	s_waitcnt vmcnt(0)
	global_atomic_cmpswap_x2 v[20:21], v11, v[20:23], s[16:17] offset:24 sc0 sc1
	s_waitcnt vmcnt(0)
	v_cmp_eq_u64_e32 vcc, v[20:21], v[22:23]
	s_or_b64 s[18:19], vcc, s[18:19]
	v_mov_b64_e32 v[22:23], v[20:21]
	s_andn2_b64 exec, exec, s[18:19]
	s_cbranch_execnz .LBB0_82
.LBB0_83:                               ;   in Loop: Header=BB0_39 Depth=1
	s_or_b64 exec, exec, s[6:7]
	s_and_b64 vcc, exec, s[10:11]
	s_cbranch_vccz .LBB0_169
; %bb.84:                               ;   in Loop: Header=BB0_39 Depth=1
	s_waitcnt vmcnt(0)
	v_and_b32_e32 v20, -3, v8
	v_mov_b32_e32 v21, v9
	s_mov_b64 s[18:19], 39
	s_getpc_b64 s[6:7]
	s_add_u32 s6, s6, .str.2@rel32@lo+4
	s_addc_u32 s7, s7, .str.2@rel32@hi+12
	s_branch .LBB0_86
.LBB0_85:                               ;   in Loop: Header=BB0_86 Depth=2
	s_or_b64 exec, exec, s[24:25]
	s_sub_u32 s18, s18, s20
	s_subb_u32 s19, s19, s21
	s_add_u32 s6, s6, s20
	s_addc_u32 s7, s7, s21
	s_cmp_lg_u64 s[18:19], 0
	s_cbranch_scc0 .LBB0_168
.LBB0_86:                               ;   Parent Loop BB0_39 Depth=1
                                        ; =>  This Loop Header: Depth=2
                                        ;       Child Loop BB0_89 Depth 3
                                        ;       Child Loop BB0_97 Depth 3
	;; [unrolled: 1-line block ×11, first 2 shown]
	v_cmp_lt_u64_e64 s[2:3], s[18:19], 56
	s_and_b64 s[2:3], s[2:3], exec
	s_cselect_b32 s21, s19, 0
	s_cselect_b32 s20, s18, 56
	v_cmp_gt_u64_e64 s[22:23], s[18:19], 7
	s_add_u32 s2, s6, 8
	s_addc_u32 s3, s7, 0
	s_and_b64 vcc, exec, s[22:23]
	s_cbranch_vccnz .LBB0_90
; %bb.87:                               ;   in Loop: Header=BB0_86 Depth=2
	s_cmp_eq_u64 s[18:19], 0
	s_cbranch_scc1 .LBB0_91
; %bb.88:                               ;   in Loop: Header=BB0_86 Depth=2
	s_lshl_b64 s[2:3], s[20:21], 3
	s_mov_b64 s[22:23], 0
	s_waitcnt vmcnt(0)
	v_mov_b64_e32 v[22:23], 0
	s_mov_b64 s[24:25], s[6:7]
.LBB0_89:                               ;   Parent Loop BB0_39 Depth=1
                                        ;     Parent Loop BB0_86 Depth=2
                                        ; =>    This Inner Loop Header: Depth=3
	global_load_ubyte v10, v11, s[24:25]
	s_waitcnt vmcnt(0)
	v_and_b32_e32 v10, 0xffff, v10
	v_lshlrev_b64 v[12:13], s22, v[10:11]
	s_add_u32 s22, s22, 8
	s_addc_u32 s23, s23, 0
	s_add_u32 s24, s24, 1
	s_addc_u32 s25, s25, 0
	v_or_b32_e32 v22, v12, v22
	s_cmp_lg_u32 s2, s22
	v_or_b32_e32 v23, v13, v23
	s_cbranch_scc1 .LBB0_89
	s_branch .LBB0_92
.LBB0_90:                               ;   in Loop: Header=BB0_86 Depth=2
	s_mov_b32 s5, 0
	s_branch .LBB0_93
.LBB0_91:                               ;   in Loop: Header=BB0_86 Depth=2
	s_waitcnt vmcnt(0)
	v_mov_b64_e32 v[22:23], 0
.LBB0_92:                               ;   in Loop: Header=BB0_86 Depth=2
	s_mov_b64 s[2:3], s[6:7]
	s_mov_b32 s5, 0
	s_cbranch_execnz .LBB0_94
.LBB0_93:                               ;   in Loop: Header=BB0_86 Depth=2
	global_load_dwordx2 v[22:23], v11, s[6:7]
	s_add_i32 s5, s20, -8
.LBB0_94:                               ;   in Loop: Header=BB0_86 Depth=2
	s_add_u32 s22, s2, 8
	s_addc_u32 s23, s3, 0
	s_cmp_gt_u32 s5, 7
	s_cbranch_scc1 .LBB0_98
; %bb.95:                               ;   in Loop: Header=BB0_86 Depth=2
	s_cmp_eq_u32 s5, 0
	s_cbranch_scc1 .LBB0_99
; %bb.96:                               ;   in Loop: Header=BB0_86 Depth=2
	s_mov_b64 s[22:23], 0
	v_mov_b64_e32 v[24:25], 0
	s_mov_b64 s[24:25], 0
.LBB0_97:                               ;   Parent Loop BB0_39 Depth=1
                                        ;     Parent Loop BB0_86 Depth=2
                                        ; =>    This Inner Loop Header: Depth=3
	s_add_u32 s26, s2, s24
	s_addc_u32 s27, s3, s25
	global_load_ubyte v10, v11, s[26:27]
	s_add_u32 s24, s24, 1
	s_addc_u32 s25, s25, 0
	s_waitcnt vmcnt(0)
	v_and_b32_e32 v10, 0xffff, v10
	v_lshlrev_b64 v[12:13], s22, v[10:11]
	s_add_u32 s22, s22, 8
	s_addc_u32 s23, s23, 0
	v_or_b32_e32 v24, v12, v24
	s_cmp_lg_u32 s5, s24
	v_or_b32_e32 v25, v13, v25
	s_cbranch_scc1 .LBB0_97
	s_branch .LBB0_100
.LBB0_98:                               ;   in Loop: Header=BB0_86 Depth=2
                                        ; implicit-def: $vgpr24_vgpr25
	s_mov_b32 s26, 0
	s_branch .LBB0_101
.LBB0_99:                               ;   in Loop: Header=BB0_86 Depth=2
	v_mov_b64_e32 v[24:25], 0
.LBB0_100:                              ;   in Loop: Header=BB0_86 Depth=2
	s_mov_b64 s[22:23], s[2:3]
	s_mov_b32 s26, 0
	s_cbranch_execnz .LBB0_102
.LBB0_101:                              ;   in Loop: Header=BB0_86 Depth=2
	global_load_dwordx2 v[24:25], v11, s[2:3]
	s_add_i32 s26, s5, -8
.LBB0_102:                              ;   in Loop: Header=BB0_86 Depth=2
	s_add_u32 s2, s22, 8
	s_addc_u32 s3, s23, 0
	s_cmp_gt_u32 s26, 7
	s_cbranch_scc1 .LBB0_106
; %bb.103:                              ;   in Loop: Header=BB0_86 Depth=2
	s_cmp_eq_u32 s26, 0
	s_cbranch_scc1 .LBB0_107
; %bb.104:                              ;   in Loop: Header=BB0_86 Depth=2
	s_mov_b64 s[2:3], 0
	v_mov_b64_e32 v[26:27], 0
	s_mov_b64 s[24:25], 0
.LBB0_105:                              ;   Parent Loop BB0_39 Depth=1
                                        ;     Parent Loop BB0_86 Depth=2
                                        ; =>    This Inner Loop Header: Depth=3
	s_add_u32 s28, s22, s24
	s_addc_u32 s29, s23, s25
	global_load_ubyte v10, v11, s[28:29]
	s_add_u32 s24, s24, 1
	s_addc_u32 s25, s25, 0
	s_waitcnt vmcnt(0)
	v_and_b32_e32 v10, 0xffff, v10
	v_lshlrev_b64 v[12:13], s2, v[10:11]
	s_add_u32 s2, s2, 8
	s_addc_u32 s3, s3, 0
	v_or_b32_e32 v26, v12, v26
	s_cmp_lg_u32 s26, s24
	v_or_b32_e32 v27, v13, v27
	s_cbranch_scc1 .LBB0_105
	s_branch .LBB0_108
.LBB0_106:                              ;   in Loop: Header=BB0_86 Depth=2
	s_mov_b32 s5, 0
	s_branch .LBB0_109
.LBB0_107:                              ;   in Loop: Header=BB0_86 Depth=2
	v_mov_b64_e32 v[26:27], 0
.LBB0_108:                              ;   in Loop: Header=BB0_86 Depth=2
	s_mov_b64 s[2:3], s[22:23]
	s_mov_b32 s5, 0
	s_cbranch_execnz .LBB0_110
.LBB0_109:                              ;   in Loop: Header=BB0_86 Depth=2
	global_load_dwordx2 v[26:27], v11, s[22:23]
	s_add_i32 s5, s26, -8
.LBB0_110:                              ;   in Loop: Header=BB0_86 Depth=2
	s_add_u32 s22, s2, 8
	s_addc_u32 s23, s3, 0
	s_cmp_gt_u32 s5, 7
	s_cbranch_scc1 .LBB0_114
; %bb.111:                              ;   in Loop: Header=BB0_86 Depth=2
	s_cmp_eq_u32 s5, 0
	s_cbranch_scc1 .LBB0_115
; %bb.112:                              ;   in Loop: Header=BB0_86 Depth=2
	s_mov_b64 s[22:23], 0
	v_mov_b64_e32 v[28:29], 0
	s_mov_b64 s[24:25], 0
.LBB0_113:                              ;   Parent Loop BB0_39 Depth=1
                                        ;     Parent Loop BB0_86 Depth=2
                                        ; =>    This Inner Loop Header: Depth=3
	s_add_u32 s26, s2, s24
	s_addc_u32 s27, s3, s25
	global_load_ubyte v10, v11, s[26:27]
	s_add_u32 s24, s24, 1
	s_addc_u32 s25, s25, 0
	s_waitcnt vmcnt(0)
	v_and_b32_e32 v10, 0xffff, v10
	v_lshlrev_b64 v[12:13], s22, v[10:11]
	s_add_u32 s22, s22, 8
	s_addc_u32 s23, s23, 0
	v_or_b32_e32 v28, v12, v28
	s_cmp_lg_u32 s5, s24
	v_or_b32_e32 v29, v13, v29
	s_cbranch_scc1 .LBB0_113
	s_branch .LBB0_116
.LBB0_114:                              ;   in Loop: Header=BB0_86 Depth=2
                                        ; implicit-def: $vgpr28_vgpr29
	s_mov_b32 s26, 0
	s_branch .LBB0_117
.LBB0_115:                              ;   in Loop: Header=BB0_86 Depth=2
	v_mov_b64_e32 v[28:29], 0
.LBB0_116:                              ;   in Loop: Header=BB0_86 Depth=2
	s_mov_b64 s[22:23], s[2:3]
	s_mov_b32 s26, 0
	s_cbranch_execnz .LBB0_118
.LBB0_117:                              ;   in Loop: Header=BB0_86 Depth=2
	global_load_dwordx2 v[28:29], v11, s[2:3]
	s_add_i32 s26, s5, -8
.LBB0_118:                              ;   in Loop: Header=BB0_86 Depth=2
	s_add_u32 s2, s22, 8
	s_addc_u32 s3, s23, 0
	s_cmp_gt_u32 s26, 7
	s_cbranch_scc1 .LBB0_122
; %bb.119:                              ;   in Loop: Header=BB0_86 Depth=2
	s_cmp_eq_u32 s26, 0
	s_cbranch_scc1 .LBB0_123
; %bb.120:                              ;   in Loop: Header=BB0_86 Depth=2
	s_mov_b64 s[2:3], 0
	v_mov_b64_e32 v[30:31], 0
	s_mov_b64 s[24:25], 0
.LBB0_121:                              ;   Parent Loop BB0_39 Depth=1
                                        ;     Parent Loop BB0_86 Depth=2
                                        ; =>    This Inner Loop Header: Depth=3
	s_add_u32 s28, s22, s24
	s_addc_u32 s29, s23, s25
	global_load_ubyte v10, v11, s[28:29]
	s_add_u32 s24, s24, 1
	s_addc_u32 s25, s25, 0
	s_waitcnt vmcnt(0)
	v_and_b32_e32 v10, 0xffff, v10
	v_lshlrev_b64 v[12:13], s2, v[10:11]
	s_add_u32 s2, s2, 8
	s_addc_u32 s3, s3, 0
	v_or_b32_e32 v30, v12, v30
	s_cmp_lg_u32 s26, s24
	v_or_b32_e32 v31, v13, v31
	s_cbranch_scc1 .LBB0_121
	s_branch .LBB0_124
.LBB0_122:                              ;   in Loop: Header=BB0_86 Depth=2
	s_mov_b32 s5, 0
	s_branch .LBB0_125
.LBB0_123:                              ;   in Loop: Header=BB0_86 Depth=2
	v_mov_b64_e32 v[30:31], 0
.LBB0_124:                              ;   in Loop: Header=BB0_86 Depth=2
	s_mov_b64 s[2:3], s[22:23]
	s_mov_b32 s5, 0
	s_cbranch_execnz .LBB0_126
.LBB0_125:                              ;   in Loop: Header=BB0_86 Depth=2
	global_load_dwordx2 v[30:31], v11, s[22:23]
	s_add_i32 s5, s26, -8
.LBB0_126:                              ;   in Loop: Header=BB0_86 Depth=2
	s_add_u32 s22, s2, 8
	s_addc_u32 s23, s3, 0
	s_cmp_gt_u32 s5, 7
	s_cbranch_scc1 .LBB0_130
; %bb.127:                              ;   in Loop: Header=BB0_86 Depth=2
	s_cmp_eq_u32 s5, 0
	s_cbranch_scc1 .LBB0_131
; %bb.128:                              ;   in Loop: Header=BB0_86 Depth=2
	s_mov_b64 s[22:23], 0
	v_mov_b64_e32 v[32:33], 0
	s_mov_b64 s[24:25], 0
.LBB0_129:                              ;   Parent Loop BB0_39 Depth=1
                                        ;     Parent Loop BB0_86 Depth=2
                                        ; =>    This Inner Loop Header: Depth=3
	s_add_u32 s26, s2, s24
	s_addc_u32 s27, s3, s25
	global_load_ubyte v10, v11, s[26:27]
	s_add_u32 s24, s24, 1
	s_addc_u32 s25, s25, 0
	s_waitcnt vmcnt(0)
	v_and_b32_e32 v10, 0xffff, v10
	v_lshlrev_b64 v[12:13], s22, v[10:11]
	s_add_u32 s22, s22, 8
	s_addc_u32 s23, s23, 0
	v_or_b32_e32 v32, v12, v32
	s_cmp_lg_u32 s5, s24
	v_or_b32_e32 v33, v13, v33
	s_cbranch_scc1 .LBB0_129
	s_branch .LBB0_132
.LBB0_130:                              ;   in Loop: Header=BB0_86 Depth=2
                                        ; implicit-def: $vgpr32_vgpr33
	s_mov_b32 s26, 0
	s_branch .LBB0_133
.LBB0_131:                              ;   in Loop: Header=BB0_86 Depth=2
	v_mov_b64_e32 v[32:33], 0
.LBB0_132:                              ;   in Loop: Header=BB0_86 Depth=2
	s_mov_b64 s[22:23], s[2:3]
	s_mov_b32 s26, 0
	s_cbranch_execnz .LBB0_134
.LBB0_133:                              ;   in Loop: Header=BB0_86 Depth=2
	global_load_dwordx2 v[32:33], v11, s[2:3]
	s_add_i32 s26, s5, -8
.LBB0_134:                              ;   in Loop: Header=BB0_86 Depth=2
	s_cmp_gt_u32 s26, 7
	s_cbranch_scc1 .LBB0_138
; %bb.135:                              ;   in Loop: Header=BB0_86 Depth=2
	s_cmp_eq_u32 s26, 0
	s_cbranch_scc1 .LBB0_139
; %bb.136:                              ;   in Loop: Header=BB0_86 Depth=2
	s_mov_b64 s[2:3], 0
	v_mov_b64_e32 v[34:35], 0
	s_mov_b64 s[24:25], s[22:23]
.LBB0_137:                              ;   Parent Loop BB0_39 Depth=1
                                        ;     Parent Loop BB0_86 Depth=2
                                        ; =>    This Inner Loop Header: Depth=3
	global_load_ubyte v10, v11, s[24:25]
	s_add_i32 s26, s26, -1
	s_waitcnt vmcnt(0)
	v_and_b32_e32 v10, 0xffff, v10
	v_lshlrev_b64 v[12:13], s2, v[10:11]
	s_add_u32 s2, s2, 8
	s_addc_u32 s3, s3, 0
	s_add_u32 s24, s24, 1
	s_addc_u32 s25, s25, 0
	v_or_b32_e32 v34, v12, v34
	s_cmp_lg_u32 s26, 0
	v_or_b32_e32 v35, v13, v35
	s_cbranch_scc1 .LBB0_137
	s_branch .LBB0_140
.LBB0_138:                              ;   in Loop: Header=BB0_86 Depth=2
	s_branch .LBB0_141
.LBB0_139:                              ;   in Loop: Header=BB0_86 Depth=2
	v_mov_b64_e32 v[34:35], 0
.LBB0_140:                              ;   in Loop: Header=BB0_86 Depth=2
	s_cbranch_execnz .LBB0_142
.LBB0_141:                              ;   in Loop: Header=BB0_86 Depth=2
	global_load_dwordx2 v[34:35], v11, s[22:23]
.LBB0_142:                              ;   in Loop: Header=BB0_86 Depth=2
	v_readfirstlane_b32 s2, v52
	v_mov_b64_e32 v[12:13], 0
	s_nop 0
	v_cmp_eq_u32_e64 s[2:3], s2, v52
	s_and_saveexec_b64 s[22:23], s[2:3]
	s_cbranch_execz .LBB0_148
; %bb.143:                              ;   in Loop: Header=BB0_86 Depth=2
	global_load_dwordx2 v[38:39], v11, s[16:17] offset:24 sc0 sc1
	s_waitcnt vmcnt(0)
	buffer_inv sc0 sc1
	global_load_dwordx2 v[12:13], v11, s[16:17] offset:40
	global_load_dwordx2 v[36:37], v11, s[16:17]
	s_waitcnt vmcnt(1)
	v_and_b32_e32 v10, v12, v38
	v_and_b32_e32 v12, v13, v39
	v_mul_lo_u32 v12, v12, 24
	v_mul_hi_u32 v13, v10, 24
	v_add_u32_e32 v13, v13, v12
	v_mul_lo_u32 v12, v10, 24
	s_waitcnt vmcnt(0)
	v_lshl_add_u64 v[12:13], v[36:37], 0, v[12:13]
	global_load_dwordx2 v[36:37], v[12:13], off sc0 sc1
	s_waitcnt vmcnt(0)
	global_atomic_cmpswap_x2 v[12:13], v11, v[36:39], s[16:17] offset:24 sc0 sc1
	s_waitcnt vmcnt(0)
	buffer_inv sc0 sc1
	v_cmp_ne_u64_e32 vcc, v[12:13], v[38:39]
	s_and_saveexec_b64 s[24:25], vcc
	s_cbranch_execz .LBB0_147
; %bb.144:                              ;   in Loop: Header=BB0_86 Depth=2
	s_mov_b64 s[26:27], 0
.LBB0_145:                              ;   Parent Loop BB0_39 Depth=1
                                        ;     Parent Loop BB0_86 Depth=2
                                        ; =>    This Inner Loop Header: Depth=3
	s_sleep 1
	global_load_dwordx2 v[36:37], v11, s[16:17] offset:40
	global_load_dwordx2 v[50:51], v11, s[16:17]
	v_mov_b64_e32 v[38:39], v[12:13]
	s_waitcnt vmcnt(1)
	v_and_b32_e32 v10, v36, v38
	s_waitcnt vmcnt(0)
	v_mad_u64_u32 v[12:13], s[28:29], v10, 24, v[50:51]
	v_and_b32_e32 v37, v37, v39
	v_mov_b32_e32 v10, v13
	v_mad_u64_u32 v[36:37], s[28:29], v37, 24, v[10:11]
	v_mov_b32_e32 v13, v36
	global_load_dwordx2 v[36:37], v[12:13], off sc0 sc1
	s_waitcnt vmcnt(0)
	global_atomic_cmpswap_x2 v[12:13], v11, v[36:39], s[16:17] offset:24 sc0 sc1
	s_waitcnt vmcnt(0)
	buffer_inv sc0 sc1
	v_cmp_eq_u64_e32 vcc, v[12:13], v[38:39]
	s_or_b64 s[26:27], vcc, s[26:27]
	s_andn2_b64 exec, exec, s[26:27]
	s_cbranch_execnz .LBB0_145
; %bb.146:                              ;   in Loop: Header=BB0_86 Depth=2
	s_or_b64 exec, exec, s[26:27]
.LBB0_147:                              ;   in Loop: Header=BB0_86 Depth=2
	s_or_b64 exec, exec, s[24:25]
.LBB0_148:                              ;   in Loop: Header=BB0_86 Depth=2
	s_or_b64 exec, exec, s[22:23]
	global_load_dwordx2 v[50:51], v11, s[16:17] offset:40
	global_load_dwordx4 v[36:39], v11, s[16:17]
	v_readfirstlane_b32 s23, v13
	v_readfirstlane_b32 s22, v12
	s_mov_b64 s[24:25], exec
	s_waitcnt vmcnt(1)
	v_readfirstlane_b32 s26, v50
	v_readfirstlane_b32 s27, v51
	s_and_b64 s[26:27], s[26:27], s[22:23]
	s_mul_i32 s5, s27, 24
	s_mul_hi_u32 s28, s26, 24
	s_add_i32 s29, s28, s5
	s_mul_i32 s28, s26, 24
	s_waitcnt vmcnt(0)
	v_lshl_add_u64 v[50:51], v[36:37], 0, s[28:29]
	s_and_saveexec_b64 s[28:29], s[2:3]
	s_cbranch_execz .LBB0_150
; %bb.149:                              ;   in Loop: Header=BB0_86 Depth=2
	v_mov_b64_e32 v[12:13], s[24:25]
	global_store_dwordx4 v[50:51], v[12:15], off offset:8
.LBB0_150:                              ;   in Loop: Header=BB0_86 Depth=2
	s_or_b64 exec, exec, s[28:29]
	s_lshl_b64 s[24:25], s[26:27], 12
	v_lshl_add_u64 v[12:13], v[38:39], 0, s[24:25]
	v_cmp_gt_u64_e64 s[24:25], s[18:19], 56
	s_and_b64 s[24:25], s[24:25], exec
	s_cselect_b32 s5, 0, 2
	s_lshl_b32 s24, s20, 2
	s_add_i32 s24, s24, 28
	v_and_b32_e32 v10, 0xffffff1f, v20
	s_and_b32 s24, s24, 0x1e0
	v_or_b32_e32 v10, s5, v10
	v_or_b32_e32 v20, s24, v10
	v_readfirstlane_b32 s24, v12
	v_readfirstlane_b32 s25, v13
	s_nop 4
	global_store_dwordx4 v48, v[20:23], s[24:25]
	global_store_dwordx4 v48, v[24:27], s[24:25] offset:16
	global_store_dwordx4 v48, v[28:31], s[24:25] offset:32
	;; [unrolled: 1-line block ×3, first 2 shown]
	s_and_saveexec_b64 s[24:25], s[2:3]
	s_cbranch_execz .LBB0_158
; %bb.151:                              ;   in Loop: Header=BB0_86 Depth=2
	global_load_dwordx2 v[28:29], v11, s[16:17] offset:32 sc0 sc1
	global_load_dwordx2 v[20:21], v11, s[16:17] offset:40
	v_mov_b32_e32 v26, s22
	v_mov_b32_e32 v27, s23
	s_waitcnt vmcnt(0)
	v_readfirstlane_b32 s26, v20
	v_readfirstlane_b32 s27, v21
	s_and_b64 s[26:27], s[26:27], s[22:23]
	s_mul_i32 s5, s27, 24
	s_mul_hi_u32 s27, s26, 24
	s_mul_i32 s26, s26, 24
	s_add_i32 s27, s27, s5
	v_lshl_add_u64 v[24:25], v[36:37], 0, s[26:27]
	global_store_dwordx2 v[24:25], v[28:29], off
	buffer_wbl2 sc0 sc1
	s_waitcnt vmcnt(0)
	global_atomic_cmpswap_x2 v[22:23], v11, v[26:29], s[16:17] offset:32 sc0 sc1
	s_waitcnt vmcnt(0)
	v_cmp_ne_u64_e32 vcc, v[22:23], v[28:29]
	s_and_saveexec_b64 s[26:27], vcc
	s_cbranch_execz .LBB0_154
; %bb.152:                              ;   in Loop: Header=BB0_86 Depth=2
	s_mov_b64 s[28:29], 0
.LBB0_153:                              ;   Parent Loop BB0_39 Depth=1
                                        ;     Parent Loop BB0_86 Depth=2
                                        ; =>    This Inner Loop Header: Depth=3
	s_sleep 1
	global_store_dwordx2 v[24:25], v[22:23], off
	v_mov_b32_e32 v20, s22
	v_mov_b32_e32 v21, s23
	buffer_wbl2 sc0 sc1
	s_waitcnt vmcnt(0)
	global_atomic_cmpswap_x2 v[20:21], v11, v[20:23], s[16:17] offset:32 sc0 sc1
	s_waitcnt vmcnt(0)
	v_cmp_eq_u64_e32 vcc, v[20:21], v[22:23]
	s_or_b64 s[28:29], vcc, s[28:29]
	v_mov_b64_e32 v[22:23], v[20:21]
	s_andn2_b64 exec, exec, s[28:29]
	s_cbranch_execnz .LBB0_153
.LBB0_154:                              ;   in Loop: Header=BB0_86 Depth=2
	s_or_b64 exec, exec, s[26:27]
	global_load_dwordx2 v[20:21], v11, s[16:17] offset:16
	s_mov_b64 s[28:29], exec
	v_mbcnt_lo_u32_b32 v10, s28, 0
	v_mbcnt_hi_u32_b32 v10, s29, v10
	v_cmp_eq_u32_e32 vcc, 0, v10
	s_and_saveexec_b64 s[26:27], vcc
	s_cbranch_execz .LBB0_156
; %bb.155:                              ;   in Loop: Header=BB0_86 Depth=2
	s_bcnt1_i32_b64 s5, s[28:29]
	v_mov_b32_e32 v10, s5
	buffer_wbl2 sc0 sc1
	s_waitcnt vmcnt(0)
	global_atomic_add_x2 v[20:21], v[10:11], off offset:8 sc1
.LBB0_156:                              ;   in Loop: Header=BB0_86 Depth=2
	s_or_b64 exec, exec, s[26:27]
	s_waitcnt vmcnt(0)
	global_load_dwordx2 v[22:23], v[20:21], off offset:16
	s_waitcnt vmcnt(0)
	v_cmp_eq_u64_e32 vcc, 0, v[22:23]
	s_cbranch_vccnz .LBB0_158
; %bb.157:                              ;   in Loop: Header=BB0_86 Depth=2
	global_load_dword v10, v[20:21], off offset:24
	s_waitcnt vmcnt(0)
	v_readfirstlane_b32 s5, v10
	s_and_b32 m0, s5, 0xffffff
	buffer_wbl2 sc0 sc1
	global_store_dwordx2 v[22:23], v[10:11], off sc0 sc1
	s_sendmsg sendmsg(MSG_INTERRUPT)
.LBB0_158:                              ;   in Loop: Header=BB0_86 Depth=2
	s_or_b64 exec, exec, s[24:25]
	v_mov_b32_e32 v49, v11
	v_lshl_add_u64 v[12:13], v[12:13], 0, v[48:49]
	s_branch .LBB0_162
.LBB0_159:                              ;   in Loop: Header=BB0_162 Depth=3
	s_or_b64 exec, exec, s[24:25]
	v_readfirstlane_b32 s5, v10
	s_cmp_eq_u32 s5, 0
	s_cbranch_scc1 .LBB0_161
; %bb.160:                              ;   in Loop: Header=BB0_162 Depth=3
	s_sleep 1
	s_cbranch_execnz .LBB0_162
	s_branch .LBB0_164
.LBB0_161:                              ;   in Loop: Header=BB0_86 Depth=2
	s_branch .LBB0_164
.LBB0_162:                              ;   Parent Loop BB0_39 Depth=1
                                        ;     Parent Loop BB0_86 Depth=2
                                        ; =>    This Inner Loop Header: Depth=3
	v_mov_b32_e32 v10, 1
	s_and_saveexec_b64 s[24:25], s[2:3]
	s_cbranch_execz .LBB0_159
; %bb.163:                              ;   in Loop: Header=BB0_162 Depth=3
	global_load_dword v10, v[50:51], off offset:20 sc0 sc1
	s_waitcnt vmcnt(0)
	buffer_inv sc0 sc1
	v_and_b32_e32 v10, 1, v10
	s_branch .LBB0_159
.LBB0_164:                              ;   in Loop: Header=BB0_86 Depth=2
	global_load_dwordx4 v[20:23], v[12:13], off
	s_and_saveexec_b64 s[24:25], s[2:3]
	s_cbranch_execz .LBB0_85
; %bb.165:                              ;   in Loop: Header=BB0_86 Depth=2
	global_load_dwordx2 v[12:13], v11, s[16:17] offset:40
	global_load_dwordx2 v[26:27], v11, s[16:17] offset:24 sc0 sc1
	global_load_dwordx2 v[22:23], v11, s[16:17]
	s_waitcnt vmcnt(2)
	v_readfirstlane_b32 s26, v12
	v_readfirstlane_b32 s27, v13
	s_add_u32 s5, s26, 1
	s_addc_u32 s28, s27, 0
	s_add_u32 s2, s5, s22
	s_addc_u32 s3, s28, s23
	s_cmp_eq_u64 s[2:3], 0
	s_cselect_b32 s3, s28, s3
	s_cselect_b32 s2, s5, s2
	s_and_b64 s[22:23], s[2:3], s[26:27]
	s_mul_i32 s5, s23, 24
	s_mul_hi_u32 s23, s22, 24
	s_mul_i32 s22, s22, 24
	s_add_i32 s23, s23, s5
	s_waitcnt vmcnt(0)
	v_lshl_add_u64 v[12:13], v[22:23], 0, s[22:23]
	v_mov_b32_e32 v24, s2
	global_store_dwordx2 v[12:13], v[26:27], off
	v_mov_b32_e32 v25, s3
	buffer_wbl2 sc0 sc1
	s_waitcnt vmcnt(0)
	global_atomic_cmpswap_x2 v[24:25], v11, v[24:27], s[16:17] offset:24 sc0 sc1
	s_waitcnt vmcnt(0)
	v_cmp_ne_u64_e32 vcc, v[24:25], v[26:27]
	s_and_b64 exec, exec, vcc
	s_cbranch_execz .LBB0_85
; %bb.166:                              ;   in Loop: Header=BB0_86 Depth=2
	s_mov_b64 s[22:23], 0
.LBB0_167:                              ;   Parent Loop BB0_39 Depth=1
                                        ;     Parent Loop BB0_86 Depth=2
                                        ; =>    This Inner Loop Header: Depth=3
	s_sleep 1
	global_store_dwordx2 v[12:13], v[24:25], off
	v_mov_b32_e32 v22, s2
	v_mov_b32_e32 v23, s3
	buffer_wbl2 sc0 sc1
	s_waitcnt vmcnt(0)
	global_atomic_cmpswap_x2 v[22:23], v11, v[22:25], s[16:17] offset:24 sc0 sc1
	s_waitcnt vmcnt(0)
	v_cmp_eq_u64_e32 vcc, v[22:23], v[24:25]
	s_or_b64 s[22:23], vcc, s[22:23]
	v_mov_b64_e32 v[24:25], v[22:23]
	s_andn2_b64 exec, exec, s[22:23]
	s_cbranch_execnz .LBB0_167
	s_branch .LBB0_85
.LBB0_168:                              ;   in Loop: Header=BB0_39 Depth=1
	s_branch .LBB0_197
.LBB0_169:                              ;   in Loop: Header=BB0_39 Depth=1
	s_cbranch_execz .LBB0_197
; %bb.170:                              ;   in Loop: Header=BB0_39 Depth=1
	v_readfirstlane_b32 s2, v52
	v_mov_b64_e32 v[12:13], 0
	s_nop 0
	v_cmp_eq_u32_e64 s[2:3], s2, v52
	s_and_saveexec_b64 s[6:7], s[2:3]
	s_cbranch_execz .LBB0_176
; %bb.171:                              ;   in Loop: Header=BB0_39 Depth=1
	global_load_dwordx2 v[22:23], v11, s[16:17] offset:24 sc0 sc1
	s_waitcnt vmcnt(0)
	buffer_inv sc0 sc1
	global_load_dwordx2 v[12:13], v11, s[16:17] offset:40
	global_load_dwordx2 v[20:21], v11, s[16:17]
	s_waitcnt vmcnt(1)
	v_and_b32_e32 v10, v12, v22
	v_and_b32_e32 v12, v13, v23
	v_mul_lo_u32 v12, v12, 24
	v_mul_hi_u32 v13, v10, 24
	v_add_u32_e32 v13, v13, v12
	v_mul_lo_u32 v12, v10, 24
	s_waitcnt vmcnt(0)
	v_lshl_add_u64 v[12:13], v[20:21], 0, v[12:13]
	global_load_dwordx2 v[20:21], v[12:13], off sc0 sc1
	s_waitcnt vmcnt(0)
	global_atomic_cmpswap_x2 v[12:13], v11, v[20:23], s[16:17] offset:24 sc0 sc1
	s_waitcnt vmcnt(0)
	buffer_inv sc0 sc1
	v_cmp_ne_u64_e32 vcc, v[12:13], v[22:23]
	s_and_saveexec_b64 s[18:19], vcc
	s_cbranch_execz .LBB0_175
; %bb.172:                              ;   in Loop: Header=BB0_39 Depth=1
	s_mov_b64 s[20:21], 0
.LBB0_173:                              ;   Parent Loop BB0_39 Depth=1
                                        ; =>  This Inner Loop Header: Depth=2
	s_sleep 1
	global_load_dwordx2 v[20:21], v11, s[16:17] offset:40
	global_load_dwordx2 v[24:25], v11, s[16:17]
	v_mov_b64_e32 v[22:23], v[12:13]
	s_waitcnt vmcnt(1)
	v_and_b32_e32 v10, v20, v22
	s_waitcnt vmcnt(0)
	v_mad_u64_u32 v[12:13], s[22:23], v10, 24, v[24:25]
	v_and_b32_e32 v21, v21, v23
	v_mov_b32_e32 v10, v13
	v_mad_u64_u32 v[20:21], s[22:23], v21, 24, v[10:11]
	v_mov_b32_e32 v13, v20
	global_load_dwordx2 v[20:21], v[12:13], off sc0 sc1
	s_waitcnt vmcnt(0)
	global_atomic_cmpswap_x2 v[12:13], v11, v[20:23], s[16:17] offset:24 sc0 sc1
	s_waitcnt vmcnt(0)
	buffer_inv sc0 sc1
	v_cmp_eq_u64_e32 vcc, v[12:13], v[22:23]
	s_or_b64 s[20:21], vcc, s[20:21]
	s_andn2_b64 exec, exec, s[20:21]
	s_cbranch_execnz .LBB0_173
; %bb.174:                              ;   in Loop: Header=BB0_39 Depth=1
	s_or_b64 exec, exec, s[20:21]
.LBB0_175:                              ;   in Loop: Header=BB0_39 Depth=1
	s_or_b64 exec, exec, s[18:19]
.LBB0_176:                              ;   in Loop: Header=BB0_39 Depth=1
	s_or_b64 exec, exec, s[6:7]
	global_load_dwordx2 v[24:25], v11, s[16:17] offset:40
	global_load_dwordx4 v[20:23], v11, s[16:17]
	v_readfirstlane_b32 s19, v13
	v_readfirstlane_b32 s18, v12
	s_mov_b64 s[6:7], exec
	s_waitcnt vmcnt(1)
	v_readfirstlane_b32 s20, v24
	v_readfirstlane_b32 s21, v25
	s_and_b64 s[20:21], s[20:21], s[18:19]
	s_mul_i32 s5, s21, 24
	s_mul_hi_u32 s22, s20, 24
	s_add_i32 s23, s22, s5
	s_mul_i32 s22, s20, 24
	s_waitcnt vmcnt(0)
	v_lshl_add_u64 v[24:25], v[20:21], 0, s[22:23]
	s_and_saveexec_b64 s[22:23], s[2:3]
	s_cbranch_execz .LBB0_178
; %bb.177:                              ;   in Loop: Header=BB0_39 Depth=1
	v_mov_b64_e32 v[12:13], s[6:7]
	global_store_dwordx4 v[24:25], v[12:15], off offset:8
.LBB0_178:                              ;   in Loop: Header=BB0_39 Depth=1
	s_or_b64 exec, exec, s[22:23]
	s_lshl_b64 s[6:7], s[20:21], 12
	v_lshl_add_u64 v[12:13], v[22:23], 0, s[6:7]
	s_mov_b32 s6, s4
	s_mov_b32 s7, s4
	;; [unrolled: 1-line block ×3, first 2 shown]
	v_mov_b64_e32 v[28:29], s[6:7]
	v_and_or_b32 v8, v8, s40, 34
	v_mov_b32_e32 v10, v11
	v_readfirstlane_b32 s20, v12
	v_readfirstlane_b32 s21, v13
	v_mov_b64_e32 v[26:27], s[4:5]
	s_nop 3
	global_store_dwordx4 v48, v[8:11], s[20:21]
	global_store_dwordx4 v48, v[26:29], s[20:21] offset:16
	global_store_dwordx4 v48, v[26:29], s[20:21] offset:32
	;; [unrolled: 1-line block ×3, first 2 shown]
	s_and_saveexec_b64 s[6:7], s[2:3]
	s_cbranch_execz .LBB0_186
; %bb.179:                              ;   in Loop: Header=BB0_39 Depth=1
	global_load_dwordx2 v[28:29], v11, s[16:17] offset:32 sc0 sc1
	global_load_dwordx2 v[8:9], v11, s[16:17] offset:40
	v_mov_b32_e32 v26, s18
	v_mov_b32_e32 v27, s19
	s_waitcnt vmcnt(0)
	v_readfirstlane_b32 s20, v8
	v_readfirstlane_b32 s21, v9
	s_and_b64 s[20:21], s[20:21], s[18:19]
	s_mul_i32 s5, s21, 24
	s_mul_hi_u32 s21, s20, 24
	s_mul_i32 s20, s20, 24
	s_add_i32 s21, s21, s5
	v_lshl_add_u64 v[8:9], v[20:21], 0, s[20:21]
	global_store_dwordx2 v[8:9], v[28:29], off
	buffer_wbl2 sc0 sc1
	s_waitcnt vmcnt(0)
	global_atomic_cmpswap_x2 v[22:23], v11, v[26:29], s[16:17] offset:32 sc0 sc1
	s_waitcnt vmcnt(0)
	v_cmp_ne_u64_e32 vcc, v[22:23], v[28:29]
	s_and_saveexec_b64 s[20:21], vcc
	s_cbranch_execz .LBB0_182
; %bb.180:                              ;   in Loop: Header=BB0_39 Depth=1
	s_mov_b64 s[22:23], 0
.LBB0_181:                              ;   Parent Loop BB0_39 Depth=1
                                        ; =>  This Inner Loop Header: Depth=2
	s_sleep 1
	global_store_dwordx2 v[8:9], v[22:23], off
	v_mov_b32_e32 v20, s18
	v_mov_b32_e32 v21, s19
	buffer_wbl2 sc0 sc1
	s_waitcnt vmcnt(0)
	global_atomic_cmpswap_x2 v[12:13], v11, v[20:23], s[16:17] offset:32 sc0 sc1
	s_waitcnt vmcnt(0)
	v_cmp_eq_u64_e32 vcc, v[12:13], v[22:23]
	s_or_b64 s[22:23], vcc, s[22:23]
	v_mov_b64_e32 v[22:23], v[12:13]
	s_andn2_b64 exec, exec, s[22:23]
	s_cbranch_execnz .LBB0_181
.LBB0_182:                              ;   in Loop: Header=BB0_39 Depth=1
	s_or_b64 exec, exec, s[20:21]
	global_load_dwordx2 v[8:9], v11, s[16:17] offset:16
	s_mov_b64 s[22:23], exec
	v_mbcnt_lo_u32_b32 v10, s22, 0
	v_mbcnt_hi_u32_b32 v10, s23, v10
	v_cmp_eq_u32_e32 vcc, 0, v10
	s_and_saveexec_b64 s[20:21], vcc
	s_cbranch_execz .LBB0_184
; %bb.183:                              ;   in Loop: Header=BB0_39 Depth=1
	s_bcnt1_i32_b64 s5, s[22:23]
	v_mov_b32_e32 v10, s5
	buffer_wbl2 sc0 sc1
	s_waitcnt vmcnt(0)
	global_atomic_add_x2 v[8:9], v[10:11], off offset:8 sc1
.LBB0_184:                              ;   in Loop: Header=BB0_39 Depth=1
	s_or_b64 exec, exec, s[20:21]
	s_waitcnt vmcnt(0)
	global_load_dwordx2 v[12:13], v[8:9], off offset:16
	s_waitcnt vmcnt(0)
	v_cmp_eq_u64_e32 vcc, 0, v[12:13]
	s_cbranch_vccnz .LBB0_186
; %bb.185:                              ;   in Loop: Header=BB0_39 Depth=1
	global_load_dword v10, v[8:9], off offset:24
	s_waitcnt vmcnt(0)
	v_readfirstlane_b32 s5, v10
	s_and_b32 m0, s5, 0xffffff
	buffer_wbl2 sc0 sc1
	global_store_dwordx2 v[12:13], v[10:11], off sc0 sc1
	s_sendmsg sendmsg(MSG_INTERRUPT)
.LBB0_186:                              ;   in Loop: Header=BB0_39 Depth=1
	s_or_b64 exec, exec, s[6:7]
	s_branch .LBB0_190
.LBB0_187:                              ;   in Loop: Header=BB0_190 Depth=2
	s_or_b64 exec, exec, s[6:7]
	v_readfirstlane_b32 s5, v8
	s_cmp_eq_u32 s5, 0
	s_cbranch_scc1 .LBB0_189
; %bb.188:                              ;   in Loop: Header=BB0_190 Depth=2
	s_sleep 1
	s_cbranch_execnz .LBB0_190
	s_branch .LBB0_192
.LBB0_189:                              ;   in Loop: Header=BB0_39 Depth=1
	s_branch .LBB0_192
.LBB0_190:                              ;   Parent Loop BB0_39 Depth=1
                                        ; =>  This Inner Loop Header: Depth=2
	v_mov_b32_e32 v8, 1
	s_and_saveexec_b64 s[6:7], s[2:3]
	s_cbranch_execz .LBB0_187
; %bb.191:                              ;   in Loop: Header=BB0_190 Depth=2
	global_load_dword v8, v[24:25], off offset:20 sc0 sc1
	s_waitcnt vmcnt(0)
	buffer_inv sc0 sc1
	v_and_b32_e32 v8, 1, v8
	s_branch .LBB0_187
.LBB0_192:                              ;   in Loop: Header=BB0_39 Depth=1
	s_and_saveexec_b64 s[6:7], s[2:3]
	s_cbranch_execz .LBB0_196
; %bb.193:                              ;   in Loop: Header=BB0_39 Depth=1
	global_load_dwordx2 v[8:9], v11, s[16:17] offset:40
	global_load_dwordx2 v[24:25], v11, s[16:17] offset:24 sc0 sc1
	global_load_dwordx2 v[12:13], v11, s[16:17]
	s_waitcnt vmcnt(2)
	v_readfirstlane_b32 s20, v8
	v_readfirstlane_b32 s21, v9
	s_add_u32 s5, s20, 1
	s_addc_u32 s22, s21, 0
	s_add_u32 s2, s5, s18
	s_addc_u32 s3, s22, s19
	s_cmp_eq_u64 s[2:3], 0
	s_cselect_b32 s3, s22, s3
	s_cselect_b32 s2, s5, s2
	s_and_b64 s[18:19], s[2:3], s[20:21]
	s_mul_i32 s5, s19, 24
	s_mul_hi_u32 s19, s18, 24
	s_mul_i32 s18, s18, 24
	s_add_i32 s19, s19, s5
	s_waitcnt vmcnt(0)
	v_lshl_add_u64 v[8:9], v[12:13], 0, s[18:19]
	v_mov_b32_e32 v22, s2
	global_store_dwordx2 v[8:9], v[24:25], off
	v_mov_b32_e32 v23, s3
	buffer_wbl2 sc0 sc1
	s_waitcnt vmcnt(0)
	global_atomic_cmpswap_x2 v[22:23], v11, v[22:25], s[16:17] offset:24 sc0 sc1
	s_waitcnt vmcnt(0)
	v_cmp_ne_u64_e32 vcc, v[22:23], v[24:25]
	s_and_b64 exec, exec, vcc
	s_cbranch_execz .LBB0_196
; %bb.194:                              ;   in Loop: Header=BB0_39 Depth=1
	s_mov_b64 s[18:19], 0
.LBB0_195:                              ;   Parent Loop BB0_39 Depth=1
                                        ; =>  This Inner Loop Header: Depth=2
	s_sleep 1
	global_store_dwordx2 v[8:9], v[22:23], off
	v_mov_b32_e32 v20, s2
	v_mov_b32_e32 v21, s3
	buffer_wbl2 sc0 sc1
	s_waitcnt vmcnt(0)
	global_atomic_cmpswap_x2 v[12:13], v11, v[20:23], s[16:17] offset:24 sc0 sc1
	s_waitcnt vmcnt(0)
	v_cmp_eq_u64_e32 vcc, v[12:13], v[22:23]
	s_or_b64 s[18:19], vcc, s[18:19]
	v_mov_b64_e32 v[22:23], v[12:13]
	s_andn2_b64 exec, exec, s[18:19]
	s_cbranch_execnz .LBB0_195
.LBB0_196:                              ;   in Loop: Header=BB0_39 Depth=1
	s_or_b64 exec, exec, s[6:7]
.LBB0_197:                              ;   in Loop: Header=BB0_39 Depth=1
	v_readfirstlane_b32 s2, v52
	s_waitcnt vmcnt(0)
	v_mov_b64_e32 v[8:9], 0
	v_cmp_eq_u32_e64 s[2:3], s2, v52
	s_and_saveexec_b64 s[6:7], s[2:3]
	s_cbranch_execz .LBB0_203
; %bb.198:                              ;   in Loop: Header=BB0_39 Depth=1
	global_load_dwordx2 v[22:23], v11, s[16:17] offset:24 sc0 sc1
	s_waitcnt vmcnt(0)
	buffer_inv sc0 sc1
	global_load_dwordx2 v[8:9], v11, s[16:17] offset:40
	global_load_dwordx2 v[12:13], v11, s[16:17]
	s_waitcnt vmcnt(1)
	v_and_b32_e32 v8, v8, v22
	v_and_b32_e32 v9, v9, v23
	v_mul_lo_u32 v9, v9, 24
	v_mul_hi_u32 v10, v8, 24
	v_add_u32_e32 v9, v10, v9
	v_mul_lo_u32 v8, v8, 24
	s_waitcnt vmcnt(0)
	v_lshl_add_u64 v[8:9], v[12:13], 0, v[8:9]
	global_load_dwordx2 v[20:21], v[8:9], off sc0 sc1
	s_waitcnt vmcnt(0)
	global_atomic_cmpswap_x2 v[8:9], v11, v[20:23], s[16:17] offset:24 sc0 sc1
	s_waitcnt vmcnt(0)
	buffer_inv sc0 sc1
	v_cmp_ne_u64_e32 vcc, v[8:9], v[22:23]
	s_and_saveexec_b64 s[18:19], vcc
	s_cbranch_execz .LBB0_202
; %bb.199:                              ;   in Loop: Header=BB0_39 Depth=1
	s_mov_b64 s[20:21], 0
.LBB0_200:                              ;   Parent Loop BB0_39 Depth=1
                                        ; =>  This Inner Loop Header: Depth=2
	s_sleep 1
	global_load_dwordx2 v[12:13], v11, s[16:17] offset:40
	global_load_dwordx2 v[20:21], v11, s[16:17]
	v_mov_b64_e32 v[22:23], v[8:9]
	s_waitcnt vmcnt(1)
	v_and_b32_e32 v8, v12, v22
	s_waitcnt vmcnt(0)
	v_mad_u64_u32 v[8:9], s[22:23], v8, 24, v[20:21]
	v_and_b32_e32 v13, v13, v23
	v_mov_b32_e32 v10, v9
	v_mad_u64_u32 v[12:13], s[22:23], v13, 24, v[10:11]
	v_mov_b32_e32 v9, v12
	global_load_dwordx2 v[20:21], v[8:9], off sc0 sc1
	s_waitcnt vmcnt(0)
	global_atomic_cmpswap_x2 v[8:9], v11, v[20:23], s[16:17] offset:24 sc0 sc1
	s_waitcnt vmcnt(0)
	buffer_inv sc0 sc1
	v_cmp_eq_u64_e32 vcc, v[8:9], v[22:23]
	s_or_b64 s[20:21], vcc, s[20:21]
	s_andn2_b64 exec, exec, s[20:21]
	s_cbranch_execnz .LBB0_200
; %bb.201:                              ;   in Loop: Header=BB0_39 Depth=1
	s_or_b64 exec, exec, s[20:21]
.LBB0_202:                              ;   in Loop: Header=BB0_39 Depth=1
	s_or_b64 exec, exec, s[18:19]
.LBB0_203:                              ;   in Loop: Header=BB0_39 Depth=1
	s_or_b64 exec, exec, s[6:7]
	global_load_dwordx2 v[12:13], v11, s[16:17] offset:40
	global_load_dwordx4 v[20:23], v11, s[16:17]
	v_readfirstlane_b32 s19, v9
	v_readfirstlane_b32 s18, v8
	s_mov_b64 s[6:7], exec
	s_waitcnt vmcnt(1)
	v_readfirstlane_b32 s20, v12
	v_readfirstlane_b32 s21, v13
	s_and_b64 s[20:21], s[20:21], s[18:19]
	s_mul_i32 s5, s21, 24
	s_mul_hi_u32 s22, s20, 24
	s_add_i32 s23, s22, s5
	s_mul_i32 s22, s20, 24
	s_waitcnt vmcnt(0)
	v_lshl_add_u64 v[8:9], v[20:21], 0, s[22:23]
	s_and_saveexec_b64 s[22:23], s[2:3]
	s_cbranch_execz .LBB0_205
; %bb.204:                              ;   in Loop: Header=BB0_39 Depth=1
	v_mov_b64_e32 v[12:13], s[6:7]
	global_store_dwordx4 v[8:9], v[12:15], off offset:8
.LBB0_205:                              ;   in Loop: Header=BB0_39 Depth=1
	s_or_b64 exec, exec, s[22:23]
	s_lshl_b64 s[6:7], s[20:21], 12
	v_lshl_add_u64 v[12:13], v[22:23], 0, s[6:7]
	s_mov_b32 s6, s4
	s_mov_b32 s7, s4
	;; [unrolled: 1-line block ×3, first 2 shown]
	v_mov_b64_e32 v[24:25], s[6:7]
	v_readfirstlane_b32 s20, v12
	v_readfirstlane_b32 s21, v13
	v_mov_b64_e32 v[22:23], s[4:5]
	s_nop 3
	global_store_dwordx4 v48, v[16:19], s[20:21]
	global_store_dwordx4 v48, v[22:25], s[20:21] offset:16
	global_store_dwordx4 v48, v[22:25], s[20:21] offset:32
	;; [unrolled: 1-line block ×3, first 2 shown]
	s_and_saveexec_b64 s[6:7], s[2:3]
	s_cbranch_execz .LBB0_213
; %bb.206:                              ;   in Loop: Header=BB0_39 Depth=1
	global_load_dwordx2 v[28:29], v11, s[16:17] offset:32 sc0 sc1
	global_load_dwordx2 v[22:23], v11, s[16:17] offset:40
	v_mov_b32_e32 v26, s18
	v_mov_b32_e32 v27, s19
	s_waitcnt vmcnt(0)
	v_readfirstlane_b32 s20, v22
	v_readfirstlane_b32 s21, v23
	s_and_b64 s[20:21], s[20:21], s[18:19]
	s_mul_i32 s5, s21, 24
	s_mul_hi_u32 s21, s20, 24
	s_mul_i32 s20, s20, 24
	s_add_i32 s21, s21, s5
	v_lshl_add_u64 v[24:25], v[20:21], 0, s[20:21]
	global_store_dwordx2 v[24:25], v[28:29], off
	buffer_wbl2 sc0 sc1
	s_waitcnt vmcnt(0)
	global_atomic_cmpswap_x2 v[22:23], v11, v[26:29], s[16:17] offset:32 sc0 sc1
	s_waitcnt vmcnt(0)
	v_cmp_ne_u64_e32 vcc, v[22:23], v[28:29]
	s_and_saveexec_b64 s[20:21], vcc
	s_cbranch_execz .LBB0_209
; %bb.207:                              ;   in Loop: Header=BB0_39 Depth=1
	s_mov_b64 s[22:23], 0
.LBB0_208:                              ;   Parent Loop BB0_39 Depth=1
                                        ; =>  This Inner Loop Header: Depth=2
	s_sleep 1
	global_store_dwordx2 v[24:25], v[22:23], off
	v_mov_b32_e32 v20, s18
	v_mov_b32_e32 v21, s19
	buffer_wbl2 sc0 sc1
	s_waitcnt vmcnt(0)
	global_atomic_cmpswap_x2 v[20:21], v11, v[20:23], s[16:17] offset:32 sc0 sc1
	s_waitcnt vmcnt(0)
	v_cmp_eq_u64_e32 vcc, v[20:21], v[22:23]
	s_or_b64 s[22:23], vcc, s[22:23]
	v_mov_b64_e32 v[22:23], v[20:21]
	s_andn2_b64 exec, exec, s[22:23]
	s_cbranch_execnz .LBB0_208
.LBB0_209:                              ;   in Loop: Header=BB0_39 Depth=1
	s_or_b64 exec, exec, s[20:21]
	global_load_dwordx2 v[20:21], v11, s[16:17] offset:16
	s_mov_b64 s[22:23], exec
	v_mbcnt_lo_u32_b32 v10, s22, 0
	v_mbcnt_hi_u32_b32 v10, s23, v10
	v_cmp_eq_u32_e32 vcc, 0, v10
	s_and_saveexec_b64 s[20:21], vcc
	s_cbranch_execz .LBB0_211
; %bb.210:                              ;   in Loop: Header=BB0_39 Depth=1
	s_bcnt1_i32_b64 s5, s[22:23]
	v_mov_b32_e32 v10, s5
	buffer_wbl2 sc0 sc1
	s_waitcnt vmcnt(0)
	global_atomic_add_x2 v[20:21], v[10:11], off offset:8 sc1
.LBB0_211:                              ;   in Loop: Header=BB0_39 Depth=1
	s_or_b64 exec, exec, s[20:21]
	s_waitcnt vmcnt(0)
	global_load_dwordx2 v[22:23], v[20:21], off offset:16
	s_waitcnt vmcnt(0)
	v_cmp_eq_u64_e32 vcc, 0, v[22:23]
	s_cbranch_vccnz .LBB0_213
; %bb.212:                              ;   in Loop: Header=BB0_39 Depth=1
	global_load_dword v10, v[20:21], off offset:24
	s_waitcnt vmcnt(0)
	v_readfirstlane_b32 s5, v10
	s_and_b32 m0, s5, 0xffffff
	buffer_wbl2 sc0 sc1
	global_store_dwordx2 v[22:23], v[10:11], off sc0 sc1
	s_sendmsg sendmsg(MSG_INTERRUPT)
.LBB0_213:                              ;   in Loop: Header=BB0_39 Depth=1
	s_or_b64 exec, exec, s[6:7]
	v_mov_b32_e32 v49, v11
	v_lshl_add_u64 v[12:13], v[12:13], 0, v[48:49]
	s_branch .LBB0_217
.LBB0_214:                              ;   in Loop: Header=BB0_217 Depth=2
	s_or_b64 exec, exec, s[6:7]
	v_readfirstlane_b32 s5, v10
	s_cmp_eq_u32 s5, 0
	s_cbranch_scc1 .LBB0_216
; %bb.215:                              ;   in Loop: Header=BB0_217 Depth=2
	s_sleep 1
	s_cbranch_execnz .LBB0_217
	s_branch .LBB0_219
.LBB0_216:                              ;   in Loop: Header=BB0_39 Depth=1
	s_branch .LBB0_219
.LBB0_217:                              ;   Parent Loop BB0_39 Depth=1
                                        ; =>  This Inner Loop Header: Depth=2
	v_mov_b32_e32 v10, 1
	s_and_saveexec_b64 s[6:7], s[2:3]
	s_cbranch_execz .LBB0_214
; %bb.218:                              ;   in Loop: Header=BB0_217 Depth=2
	global_load_dword v10, v[8:9], off offset:20 sc0 sc1
	s_waitcnt vmcnt(0)
	buffer_inv sc0 sc1
	v_and_b32_e32 v10, 1, v10
	s_branch .LBB0_214
.LBB0_219:                              ;   in Loop: Header=BB0_39 Depth=1
	global_load_dwordx2 v[8:9], v[12:13], off
	s_and_saveexec_b64 s[6:7], s[2:3]
	s_cbranch_execz .LBB0_223
; %bb.220:                              ;   in Loop: Header=BB0_39 Depth=1
	global_load_dwordx2 v[12:13], v11, s[16:17] offset:40
	global_load_dwordx2 v[24:25], v11, s[16:17] offset:24 sc0 sc1
	global_load_dwordx2 v[20:21], v11, s[16:17]
	s_waitcnt vmcnt(2)
	v_readfirstlane_b32 s20, v12
	v_readfirstlane_b32 s21, v13
	s_add_u32 s5, s20, 1
	s_addc_u32 s22, s21, 0
	s_add_u32 s2, s5, s18
	s_addc_u32 s3, s22, s19
	s_cmp_eq_u64 s[2:3], 0
	s_cselect_b32 s3, s22, s3
	s_cselect_b32 s2, s5, s2
	s_and_b64 s[18:19], s[2:3], s[20:21]
	s_mul_i32 s5, s19, 24
	s_mul_hi_u32 s19, s18, 24
	s_mul_i32 s18, s18, 24
	s_add_i32 s19, s19, s5
	s_waitcnt vmcnt(0)
	v_lshl_add_u64 v[12:13], v[20:21], 0, s[18:19]
	v_mov_b32_e32 v22, s2
	global_store_dwordx2 v[12:13], v[24:25], off
	v_mov_b32_e32 v23, s3
	buffer_wbl2 sc0 sc1
	s_waitcnt vmcnt(0)
	global_atomic_cmpswap_x2 v[22:23], v11, v[22:25], s[16:17] offset:24 sc0 sc1
	s_waitcnt vmcnt(0)
	v_cmp_ne_u64_e32 vcc, v[22:23], v[24:25]
	s_and_b64 exec, exec, vcc
	s_cbranch_execz .LBB0_223
; %bb.221:                              ;   in Loop: Header=BB0_39 Depth=1
	s_mov_b64 s[18:19], 0
.LBB0_222:                              ;   Parent Loop BB0_39 Depth=1
                                        ; =>  This Inner Loop Header: Depth=2
	s_sleep 1
	global_store_dwordx2 v[12:13], v[22:23], off
	v_mov_b32_e32 v20, s2
	v_mov_b32_e32 v21, s3
	buffer_wbl2 sc0 sc1
	s_waitcnt vmcnt(0)
	global_atomic_cmpswap_x2 v[20:21], v11, v[20:23], s[16:17] offset:24 sc0 sc1
	s_waitcnt vmcnt(0)
	v_cmp_eq_u64_e32 vcc, v[20:21], v[22:23]
	s_or_b64 s[18:19], vcc, s[18:19]
	v_mov_b64_e32 v[22:23], v[20:21]
	s_andn2_b64 exec, exec, s[18:19]
	s_cbranch_execnz .LBB0_222
.LBB0_223:                              ;   in Loop: Header=BB0_39 Depth=1
	s_or_b64 exec, exec, s[6:7]
	s_and_b64 vcc, exec, s[10:11]
	s_cbranch_vccz .LBB0_309
; %bb.224:                              ;   in Loop: Header=BB0_39 Depth=1
	s_waitcnt vmcnt(0)
	v_and_b32_e32 v20, -3, v8
	v_mov_b32_e32 v21, v9
	s_mov_b64 s[18:19], 39
	s_getpc_b64 s[6:7]
	s_add_u32 s6, s6, .str.2@rel32@lo+4
	s_addc_u32 s7, s7, .str.2@rel32@hi+12
	s_branch .LBB0_226
.LBB0_225:                              ;   in Loop: Header=BB0_226 Depth=2
	s_or_b64 exec, exec, s[24:25]
	s_sub_u32 s18, s18, s20
	s_subb_u32 s19, s19, s21
	s_add_u32 s6, s6, s20
	s_addc_u32 s7, s7, s21
	s_cmp_lg_u64 s[18:19], 0
	s_cbranch_scc0 .LBB0_308
.LBB0_226:                              ;   Parent Loop BB0_39 Depth=1
                                        ; =>  This Loop Header: Depth=2
                                        ;       Child Loop BB0_229 Depth 3
                                        ;       Child Loop BB0_237 Depth 3
	;; [unrolled: 1-line block ×11, first 2 shown]
	v_cmp_lt_u64_e64 s[2:3], s[18:19], 56
	s_and_b64 s[2:3], s[2:3], exec
	s_cselect_b32 s21, s19, 0
	s_cselect_b32 s20, s18, 56
	v_cmp_gt_u64_e64 s[22:23], s[18:19], 7
	s_add_u32 s2, s6, 8
	s_addc_u32 s3, s7, 0
	s_and_b64 vcc, exec, s[22:23]
	s_cbranch_vccnz .LBB0_230
; %bb.227:                              ;   in Loop: Header=BB0_226 Depth=2
	s_cmp_eq_u64 s[18:19], 0
	s_cbranch_scc1 .LBB0_231
; %bb.228:                              ;   in Loop: Header=BB0_226 Depth=2
	s_lshl_b64 s[2:3], s[20:21], 3
	s_mov_b64 s[22:23], 0
	s_waitcnt vmcnt(0)
	v_mov_b64_e32 v[22:23], 0
	s_mov_b64 s[24:25], s[6:7]
.LBB0_229:                              ;   Parent Loop BB0_39 Depth=1
                                        ;     Parent Loop BB0_226 Depth=2
                                        ; =>    This Inner Loop Header: Depth=3
	global_load_ubyte v10, v11, s[24:25]
	s_waitcnt vmcnt(0)
	v_and_b32_e32 v10, 0xffff, v10
	v_lshlrev_b64 v[12:13], s22, v[10:11]
	s_add_u32 s22, s22, 8
	s_addc_u32 s23, s23, 0
	s_add_u32 s24, s24, 1
	s_addc_u32 s25, s25, 0
	v_or_b32_e32 v22, v12, v22
	s_cmp_lg_u32 s2, s22
	v_or_b32_e32 v23, v13, v23
	s_cbranch_scc1 .LBB0_229
	s_branch .LBB0_232
.LBB0_230:                              ;   in Loop: Header=BB0_226 Depth=2
	s_mov_b32 s5, 0
	s_branch .LBB0_233
.LBB0_231:                              ;   in Loop: Header=BB0_226 Depth=2
	s_waitcnt vmcnt(0)
	v_mov_b64_e32 v[22:23], 0
.LBB0_232:                              ;   in Loop: Header=BB0_226 Depth=2
	s_mov_b64 s[2:3], s[6:7]
	s_mov_b32 s5, 0
	s_cbranch_execnz .LBB0_234
.LBB0_233:                              ;   in Loop: Header=BB0_226 Depth=2
	global_load_dwordx2 v[22:23], v11, s[6:7]
	s_add_i32 s5, s20, -8
.LBB0_234:                              ;   in Loop: Header=BB0_226 Depth=2
	s_add_u32 s22, s2, 8
	s_addc_u32 s23, s3, 0
	s_cmp_gt_u32 s5, 7
	s_cbranch_scc1 .LBB0_238
; %bb.235:                              ;   in Loop: Header=BB0_226 Depth=2
	s_cmp_eq_u32 s5, 0
	s_cbranch_scc1 .LBB0_239
; %bb.236:                              ;   in Loop: Header=BB0_226 Depth=2
	s_mov_b64 s[22:23], 0
	v_mov_b64_e32 v[24:25], 0
	s_mov_b64 s[24:25], 0
.LBB0_237:                              ;   Parent Loop BB0_39 Depth=1
                                        ;     Parent Loop BB0_226 Depth=2
                                        ; =>    This Inner Loop Header: Depth=3
	s_add_u32 s26, s2, s24
	s_addc_u32 s27, s3, s25
	global_load_ubyte v10, v11, s[26:27]
	s_add_u32 s24, s24, 1
	s_addc_u32 s25, s25, 0
	s_waitcnt vmcnt(0)
	v_and_b32_e32 v10, 0xffff, v10
	v_lshlrev_b64 v[12:13], s22, v[10:11]
	s_add_u32 s22, s22, 8
	s_addc_u32 s23, s23, 0
	v_or_b32_e32 v24, v12, v24
	s_cmp_lg_u32 s5, s24
	v_or_b32_e32 v25, v13, v25
	s_cbranch_scc1 .LBB0_237
	s_branch .LBB0_240
.LBB0_238:                              ;   in Loop: Header=BB0_226 Depth=2
                                        ; implicit-def: $vgpr24_vgpr25
	s_mov_b32 s26, 0
	s_branch .LBB0_241
.LBB0_239:                              ;   in Loop: Header=BB0_226 Depth=2
	v_mov_b64_e32 v[24:25], 0
.LBB0_240:                              ;   in Loop: Header=BB0_226 Depth=2
	s_mov_b64 s[22:23], s[2:3]
	s_mov_b32 s26, 0
	s_cbranch_execnz .LBB0_242
.LBB0_241:                              ;   in Loop: Header=BB0_226 Depth=2
	global_load_dwordx2 v[24:25], v11, s[2:3]
	s_add_i32 s26, s5, -8
.LBB0_242:                              ;   in Loop: Header=BB0_226 Depth=2
	s_add_u32 s2, s22, 8
	s_addc_u32 s3, s23, 0
	s_cmp_gt_u32 s26, 7
	s_cbranch_scc1 .LBB0_246
; %bb.243:                              ;   in Loop: Header=BB0_226 Depth=2
	s_cmp_eq_u32 s26, 0
	s_cbranch_scc1 .LBB0_247
; %bb.244:                              ;   in Loop: Header=BB0_226 Depth=2
	s_mov_b64 s[2:3], 0
	v_mov_b64_e32 v[26:27], 0
	s_mov_b64 s[24:25], 0
.LBB0_245:                              ;   Parent Loop BB0_39 Depth=1
                                        ;     Parent Loop BB0_226 Depth=2
                                        ; =>    This Inner Loop Header: Depth=3
	s_add_u32 s28, s22, s24
	s_addc_u32 s29, s23, s25
	global_load_ubyte v10, v11, s[28:29]
	s_add_u32 s24, s24, 1
	s_addc_u32 s25, s25, 0
	s_waitcnt vmcnt(0)
	v_and_b32_e32 v10, 0xffff, v10
	v_lshlrev_b64 v[12:13], s2, v[10:11]
	s_add_u32 s2, s2, 8
	s_addc_u32 s3, s3, 0
	v_or_b32_e32 v26, v12, v26
	s_cmp_lg_u32 s26, s24
	v_or_b32_e32 v27, v13, v27
	s_cbranch_scc1 .LBB0_245
	s_branch .LBB0_248
.LBB0_246:                              ;   in Loop: Header=BB0_226 Depth=2
	s_mov_b32 s5, 0
	s_branch .LBB0_249
.LBB0_247:                              ;   in Loop: Header=BB0_226 Depth=2
	v_mov_b64_e32 v[26:27], 0
.LBB0_248:                              ;   in Loop: Header=BB0_226 Depth=2
	s_mov_b64 s[2:3], s[22:23]
	s_mov_b32 s5, 0
	s_cbranch_execnz .LBB0_250
.LBB0_249:                              ;   in Loop: Header=BB0_226 Depth=2
	global_load_dwordx2 v[26:27], v11, s[22:23]
	s_add_i32 s5, s26, -8
.LBB0_250:                              ;   in Loop: Header=BB0_226 Depth=2
	s_add_u32 s22, s2, 8
	s_addc_u32 s23, s3, 0
	s_cmp_gt_u32 s5, 7
	s_cbranch_scc1 .LBB0_254
; %bb.251:                              ;   in Loop: Header=BB0_226 Depth=2
	s_cmp_eq_u32 s5, 0
	s_cbranch_scc1 .LBB0_255
; %bb.252:                              ;   in Loop: Header=BB0_226 Depth=2
	s_mov_b64 s[22:23], 0
	v_mov_b64_e32 v[28:29], 0
	s_mov_b64 s[24:25], 0
.LBB0_253:                              ;   Parent Loop BB0_39 Depth=1
                                        ;     Parent Loop BB0_226 Depth=2
                                        ; =>    This Inner Loop Header: Depth=3
	s_add_u32 s26, s2, s24
	s_addc_u32 s27, s3, s25
	global_load_ubyte v10, v11, s[26:27]
	s_add_u32 s24, s24, 1
	s_addc_u32 s25, s25, 0
	s_waitcnt vmcnt(0)
	v_and_b32_e32 v10, 0xffff, v10
	v_lshlrev_b64 v[12:13], s22, v[10:11]
	s_add_u32 s22, s22, 8
	s_addc_u32 s23, s23, 0
	v_or_b32_e32 v28, v12, v28
	s_cmp_lg_u32 s5, s24
	v_or_b32_e32 v29, v13, v29
	s_cbranch_scc1 .LBB0_253
	s_branch .LBB0_256
.LBB0_254:                              ;   in Loop: Header=BB0_226 Depth=2
                                        ; implicit-def: $vgpr28_vgpr29
	s_mov_b32 s26, 0
	s_branch .LBB0_257
.LBB0_255:                              ;   in Loop: Header=BB0_226 Depth=2
	v_mov_b64_e32 v[28:29], 0
.LBB0_256:                              ;   in Loop: Header=BB0_226 Depth=2
	s_mov_b64 s[22:23], s[2:3]
	s_mov_b32 s26, 0
	s_cbranch_execnz .LBB0_258
.LBB0_257:                              ;   in Loop: Header=BB0_226 Depth=2
	global_load_dwordx2 v[28:29], v11, s[2:3]
	s_add_i32 s26, s5, -8
.LBB0_258:                              ;   in Loop: Header=BB0_226 Depth=2
	s_add_u32 s2, s22, 8
	s_addc_u32 s3, s23, 0
	s_cmp_gt_u32 s26, 7
	s_cbranch_scc1 .LBB0_262
; %bb.259:                              ;   in Loop: Header=BB0_226 Depth=2
	s_cmp_eq_u32 s26, 0
	s_cbranch_scc1 .LBB0_263
; %bb.260:                              ;   in Loop: Header=BB0_226 Depth=2
	s_mov_b64 s[2:3], 0
	v_mov_b64_e32 v[30:31], 0
	s_mov_b64 s[24:25], 0
.LBB0_261:                              ;   Parent Loop BB0_39 Depth=1
                                        ;     Parent Loop BB0_226 Depth=2
                                        ; =>    This Inner Loop Header: Depth=3
	s_add_u32 s28, s22, s24
	s_addc_u32 s29, s23, s25
	global_load_ubyte v10, v11, s[28:29]
	s_add_u32 s24, s24, 1
	s_addc_u32 s25, s25, 0
	s_waitcnt vmcnt(0)
	v_and_b32_e32 v10, 0xffff, v10
	v_lshlrev_b64 v[12:13], s2, v[10:11]
	s_add_u32 s2, s2, 8
	s_addc_u32 s3, s3, 0
	v_or_b32_e32 v30, v12, v30
	s_cmp_lg_u32 s26, s24
	v_or_b32_e32 v31, v13, v31
	s_cbranch_scc1 .LBB0_261
	s_branch .LBB0_264
.LBB0_262:                              ;   in Loop: Header=BB0_226 Depth=2
	s_mov_b32 s5, 0
	s_branch .LBB0_265
.LBB0_263:                              ;   in Loop: Header=BB0_226 Depth=2
	v_mov_b64_e32 v[30:31], 0
.LBB0_264:                              ;   in Loop: Header=BB0_226 Depth=2
	s_mov_b64 s[2:3], s[22:23]
	s_mov_b32 s5, 0
	s_cbranch_execnz .LBB0_266
.LBB0_265:                              ;   in Loop: Header=BB0_226 Depth=2
	global_load_dwordx2 v[30:31], v11, s[22:23]
	s_add_i32 s5, s26, -8
.LBB0_266:                              ;   in Loop: Header=BB0_226 Depth=2
	s_add_u32 s22, s2, 8
	s_addc_u32 s23, s3, 0
	s_cmp_gt_u32 s5, 7
	s_cbranch_scc1 .LBB0_270
; %bb.267:                              ;   in Loop: Header=BB0_226 Depth=2
	s_cmp_eq_u32 s5, 0
	s_cbranch_scc1 .LBB0_271
; %bb.268:                              ;   in Loop: Header=BB0_226 Depth=2
	s_mov_b64 s[22:23], 0
	v_mov_b64_e32 v[32:33], 0
	s_mov_b64 s[24:25], 0
.LBB0_269:                              ;   Parent Loop BB0_39 Depth=1
                                        ;     Parent Loop BB0_226 Depth=2
                                        ; =>    This Inner Loop Header: Depth=3
	s_add_u32 s26, s2, s24
	s_addc_u32 s27, s3, s25
	global_load_ubyte v10, v11, s[26:27]
	s_add_u32 s24, s24, 1
	s_addc_u32 s25, s25, 0
	s_waitcnt vmcnt(0)
	v_and_b32_e32 v10, 0xffff, v10
	v_lshlrev_b64 v[12:13], s22, v[10:11]
	s_add_u32 s22, s22, 8
	s_addc_u32 s23, s23, 0
	v_or_b32_e32 v32, v12, v32
	s_cmp_lg_u32 s5, s24
	v_or_b32_e32 v33, v13, v33
	s_cbranch_scc1 .LBB0_269
	s_branch .LBB0_272
.LBB0_270:                              ;   in Loop: Header=BB0_226 Depth=2
                                        ; implicit-def: $vgpr32_vgpr33
	s_mov_b32 s26, 0
	s_branch .LBB0_273
.LBB0_271:                              ;   in Loop: Header=BB0_226 Depth=2
	v_mov_b64_e32 v[32:33], 0
.LBB0_272:                              ;   in Loop: Header=BB0_226 Depth=2
	s_mov_b64 s[22:23], s[2:3]
	s_mov_b32 s26, 0
	s_cbranch_execnz .LBB0_274
.LBB0_273:                              ;   in Loop: Header=BB0_226 Depth=2
	global_load_dwordx2 v[32:33], v11, s[2:3]
	s_add_i32 s26, s5, -8
.LBB0_274:                              ;   in Loop: Header=BB0_226 Depth=2
	s_cmp_gt_u32 s26, 7
	s_cbranch_scc1 .LBB0_278
; %bb.275:                              ;   in Loop: Header=BB0_226 Depth=2
	s_cmp_eq_u32 s26, 0
	s_cbranch_scc1 .LBB0_279
; %bb.276:                              ;   in Loop: Header=BB0_226 Depth=2
	s_mov_b64 s[2:3], 0
	v_mov_b64_e32 v[34:35], 0
	s_mov_b64 s[24:25], s[22:23]
.LBB0_277:                              ;   Parent Loop BB0_39 Depth=1
                                        ;     Parent Loop BB0_226 Depth=2
                                        ; =>    This Inner Loop Header: Depth=3
	global_load_ubyte v10, v11, s[24:25]
	s_add_i32 s26, s26, -1
	s_waitcnt vmcnt(0)
	v_and_b32_e32 v10, 0xffff, v10
	v_lshlrev_b64 v[12:13], s2, v[10:11]
	s_add_u32 s2, s2, 8
	s_addc_u32 s3, s3, 0
	s_add_u32 s24, s24, 1
	s_addc_u32 s25, s25, 0
	v_or_b32_e32 v34, v12, v34
	s_cmp_lg_u32 s26, 0
	v_or_b32_e32 v35, v13, v35
	s_cbranch_scc1 .LBB0_277
	s_branch .LBB0_280
.LBB0_278:                              ;   in Loop: Header=BB0_226 Depth=2
	s_branch .LBB0_281
.LBB0_279:                              ;   in Loop: Header=BB0_226 Depth=2
	v_mov_b64_e32 v[34:35], 0
.LBB0_280:                              ;   in Loop: Header=BB0_226 Depth=2
	s_cbranch_execnz .LBB0_282
.LBB0_281:                              ;   in Loop: Header=BB0_226 Depth=2
	global_load_dwordx2 v[34:35], v11, s[22:23]
.LBB0_282:                              ;   in Loop: Header=BB0_226 Depth=2
	v_readfirstlane_b32 s2, v52
	v_mov_b64_e32 v[12:13], 0
	s_nop 0
	v_cmp_eq_u32_e64 s[2:3], s2, v52
	s_and_saveexec_b64 s[22:23], s[2:3]
	s_cbranch_execz .LBB0_288
; %bb.283:                              ;   in Loop: Header=BB0_226 Depth=2
	global_load_dwordx2 v[38:39], v11, s[16:17] offset:24 sc0 sc1
	s_waitcnt vmcnt(0)
	buffer_inv sc0 sc1
	global_load_dwordx2 v[12:13], v11, s[16:17] offset:40
	global_load_dwordx2 v[36:37], v11, s[16:17]
	s_waitcnt vmcnt(1)
	v_and_b32_e32 v10, v12, v38
	v_and_b32_e32 v12, v13, v39
	v_mul_lo_u32 v12, v12, 24
	v_mul_hi_u32 v13, v10, 24
	v_add_u32_e32 v13, v13, v12
	v_mul_lo_u32 v12, v10, 24
	s_waitcnt vmcnt(0)
	v_lshl_add_u64 v[12:13], v[36:37], 0, v[12:13]
	global_load_dwordx2 v[36:37], v[12:13], off sc0 sc1
	s_waitcnt vmcnt(0)
	global_atomic_cmpswap_x2 v[12:13], v11, v[36:39], s[16:17] offset:24 sc0 sc1
	s_waitcnt vmcnt(0)
	buffer_inv sc0 sc1
	v_cmp_ne_u64_e32 vcc, v[12:13], v[38:39]
	s_and_saveexec_b64 s[24:25], vcc
	s_cbranch_execz .LBB0_287
; %bb.284:                              ;   in Loop: Header=BB0_226 Depth=2
	s_mov_b64 s[26:27], 0
.LBB0_285:                              ;   Parent Loop BB0_39 Depth=1
                                        ;     Parent Loop BB0_226 Depth=2
                                        ; =>    This Inner Loop Header: Depth=3
	s_sleep 1
	global_load_dwordx2 v[36:37], v11, s[16:17] offset:40
	global_load_dwordx2 v[50:51], v11, s[16:17]
	v_mov_b64_e32 v[38:39], v[12:13]
	s_waitcnt vmcnt(1)
	v_and_b32_e32 v10, v36, v38
	s_waitcnt vmcnt(0)
	v_mad_u64_u32 v[12:13], s[28:29], v10, 24, v[50:51]
	v_and_b32_e32 v37, v37, v39
	v_mov_b32_e32 v10, v13
	v_mad_u64_u32 v[36:37], s[28:29], v37, 24, v[10:11]
	v_mov_b32_e32 v13, v36
	global_load_dwordx2 v[36:37], v[12:13], off sc0 sc1
	s_waitcnt vmcnt(0)
	global_atomic_cmpswap_x2 v[12:13], v11, v[36:39], s[16:17] offset:24 sc0 sc1
	s_waitcnt vmcnt(0)
	buffer_inv sc0 sc1
	v_cmp_eq_u64_e32 vcc, v[12:13], v[38:39]
	s_or_b64 s[26:27], vcc, s[26:27]
	s_andn2_b64 exec, exec, s[26:27]
	s_cbranch_execnz .LBB0_285
; %bb.286:                              ;   in Loop: Header=BB0_226 Depth=2
	s_or_b64 exec, exec, s[26:27]
.LBB0_287:                              ;   in Loop: Header=BB0_226 Depth=2
	s_or_b64 exec, exec, s[24:25]
.LBB0_288:                              ;   in Loop: Header=BB0_226 Depth=2
	s_or_b64 exec, exec, s[22:23]
	global_load_dwordx2 v[50:51], v11, s[16:17] offset:40
	global_load_dwordx4 v[36:39], v11, s[16:17]
	v_readfirstlane_b32 s23, v13
	v_readfirstlane_b32 s22, v12
	s_mov_b64 s[24:25], exec
	s_waitcnt vmcnt(1)
	v_readfirstlane_b32 s26, v50
	v_readfirstlane_b32 s27, v51
	s_and_b64 s[26:27], s[26:27], s[22:23]
	s_mul_i32 s5, s27, 24
	s_mul_hi_u32 s28, s26, 24
	s_add_i32 s29, s28, s5
	s_mul_i32 s28, s26, 24
	s_waitcnt vmcnt(0)
	v_lshl_add_u64 v[50:51], v[36:37], 0, s[28:29]
	s_and_saveexec_b64 s[28:29], s[2:3]
	s_cbranch_execz .LBB0_290
; %bb.289:                              ;   in Loop: Header=BB0_226 Depth=2
	v_mov_b64_e32 v[12:13], s[24:25]
	global_store_dwordx4 v[50:51], v[12:15], off offset:8
.LBB0_290:                              ;   in Loop: Header=BB0_226 Depth=2
	s_or_b64 exec, exec, s[28:29]
	s_lshl_b64 s[24:25], s[26:27], 12
	v_lshl_add_u64 v[12:13], v[38:39], 0, s[24:25]
	v_cmp_gt_u64_e64 s[24:25], s[18:19], 56
	s_and_b64 s[24:25], s[24:25], exec
	s_cselect_b32 s5, 0, 2
	s_lshl_b32 s24, s20, 2
	s_add_i32 s24, s24, 28
	v_and_b32_e32 v10, 0xffffff1f, v20
	s_and_b32 s24, s24, 0x1e0
	v_or_b32_e32 v10, s5, v10
	v_or_b32_e32 v20, s24, v10
	v_readfirstlane_b32 s24, v12
	v_readfirstlane_b32 s25, v13
	s_nop 4
	global_store_dwordx4 v48, v[20:23], s[24:25]
	global_store_dwordx4 v48, v[24:27], s[24:25] offset:16
	global_store_dwordx4 v48, v[28:31], s[24:25] offset:32
	global_store_dwordx4 v48, v[32:35], s[24:25] offset:48
	s_and_saveexec_b64 s[24:25], s[2:3]
	s_cbranch_execz .LBB0_298
; %bb.291:                              ;   in Loop: Header=BB0_226 Depth=2
	global_load_dwordx2 v[28:29], v11, s[16:17] offset:32 sc0 sc1
	global_load_dwordx2 v[20:21], v11, s[16:17] offset:40
	v_mov_b32_e32 v26, s22
	v_mov_b32_e32 v27, s23
	s_waitcnt vmcnt(0)
	v_readfirstlane_b32 s26, v20
	v_readfirstlane_b32 s27, v21
	s_and_b64 s[26:27], s[26:27], s[22:23]
	s_mul_i32 s5, s27, 24
	s_mul_hi_u32 s27, s26, 24
	s_mul_i32 s26, s26, 24
	s_add_i32 s27, s27, s5
	v_lshl_add_u64 v[24:25], v[36:37], 0, s[26:27]
	global_store_dwordx2 v[24:25], v[28:29], off
	buffer_wbl2 sc0 sc1
	s_waitcnt vmcnt(0)
	global_atomic_cmpswap_x2 v[22:23], v11, v[26:29], s[16:17] offset:32 sc0 sc1
	s_waitcnt vmcnt(0)
	v_cmp_ne_u64_e32 vcc, v[22:23], v[28:29]
	s_and_saveexec_b64 s[26:27], vcc
	s_cbranch_execz .LBB0_294
; %bb.292:                              ;   in Loop: Header=BB0_226 Depth=2
	s_mov_b64 s[28:29], 0
.LBB0_293:                              ;   Parent Loop BB0_39 Depth=1
                                        ;     Parent Loop BB0_226 Depth=2
                                        ; =>    This Inner Loop Header: Depth=3
	s_sleep 1
	global_store_dwordx2 v[24:25], v[22:23], off
	v_mov_b32_e32 v20, s22
	v_mov_b32_e32 v21, s23
	buffer_wbl2 sc0 sc1
	s_waitcnt vmcnt(0)
	global_atomic_cmpswap_x2 v[20:21], v11, v[20:23], s[16:17] offset:32 sc0 sc1
	s_waitcnt vmcnt(0)
	v_cmp_eq_u64_e32 vcc, v[20:21], v[22:23]
	s_or_b64 s[28:29], vcc, s[28:29]
	v_mov_b64_e32 v[22:23], v[20:21]
	s_andn2_b64 exec, exec, s[28:29]
	s_cbranch_execnz .LBB0_293
.LBB0_294:                              ;   in Loop: Header=BB0_226 Depth=2
	s_or_b64 exec, exec, s[26:27]
	global_load_dwordx2 v[20:21], v11, s[16:17] offset:16
	s_mov_b64 s[28:29], exec
	v_mbcnt_lo_u32_b32 v10, s28, 0
	v_mbcnt_hi_u32_b32 v10, s29, v10
	v_cmp_eq_u32_e32 vcc, 0, v10
	s_and_saveexec_b64 s[26:27], vcc
	s_cbranch_execz .LBB0_296
; %bb.295:                              ;   in Loop: Header=BB0_226 Depth=2
	s_bcnt1_i32_b64 s5, s[28:29]
	v_mov_b32_e32 v10, s5
	buffer_wbl2 sc0 sc1
	s_waitcnt vmcnt(0)
	global_atomic_add_x2 v[20:21], v[10:11], off offset:8 sc1
.LBB0_296:                              ;   in Loop: Header=BB0_226 Depth=2
	s_or_b64 exec, exec, s[26:27]
	s_waitcnt vmcnt(0)
	global_load_dwordx2 v[22:23], v[20:21], off offset:16
	s_waitcnt vmcnt(0)
	v_cmp_eq_u64_e32 vcc, 0, v[22:23]
	s_cbranch_vccnz .LBB0_298
; %bb.297:                              ;   in Loop: Header=BB0_226 Depth=2
	global_load_dword v10, v[20:21], off offset:24
	s_waitcnt vmcnt(0)
	v_readfirstlane_b32 s5, v10
	s_and_b32 m0, s5, 0xffffff
	buffer_wbl2 sc0 sc1
	global_store_dwordx2 v[22:23], v[10:11], off sc0 sc1
	s_sendmsg sendmsg(MSG_INTERRUPT)
.LBB0_298:                              ;   in Loop: Header=BB0_226 Depth=2
	s_or_b64 exec, exec, s[24:25]
	v_mov_b32_e32 v49, v11
	v_lshl_add_u64 v[12:13], v[12:13], 0, v[48:49]
	s_branch .LBB0_302
.LBB0_299:                              ;   in Loop: Header=BB0_302 Depth=3
	s_or_b64 exec, exec, s[24:25]
	v_readfirstlane_b32 s5, v10
	s_cmp_eq_u32 s5, 0
	s_cbranch_scc1 .LBB0_301
; %bb.300:                              ;   in Loop: Header=BB0_302 Depth=3
	s_sleep 1
	s_cbranch_execnz .LBB0_302
	s_branch .LBB0_304
.LBB0_301:                              ;   in Loop: Header=BB0_226 Depth=2
	s_branch .LBB0_304
.LBB0_302:                              ;   Parent Loop BB0_39 Depth=1
                                        ;     Parent Loop BB0_226 Depth=2
                                        ; =>    This Inner Loop Header: Depth=3
	v_mov_b32_e32 v10, 1
	s_and_saveexec_b64 s[24:25], s[2:3]
	s_cbranch_execz .LBB0_299
; %bb.303:                              ;   in Loop: Header=BB0_302 Depth=3
	global_load_dword v10, v[50:51], off offset:20 sc0 sc1
	s_waitcnt vmcnt(0)
	buffer_inv sc0 sc1
	v_and_b32_e32 v10, 1, v10
	s_branch .LBB0_299
.LBB0_304:                              ;   in Loop: Header=BB0_226 Depth=2
	global_load_dwordx4 v[20:23], v[12:13], off
	s_and_saveexec_b64 s[24:25], s[2:3]
	s_cbranch_execz .LBB0_225
; %bb.305:                              ;   in Loop: Header=BB0_226 Depth=2
	global_load_dwordx2 v[12:13], v11, s[16:17] offset:40
	global_load_dwordx2 v[26:27], v11, s[16:17] offset:24 sc0 sc1
	global_load_dwordx2 v[22:23], v11, s[16:17]
	s_waitcnt vmcnt(2)
	v_readfirstlane_b32 s26, v12
	v_readfirstlane_b32 s27, v13
	s_add_u32 s5, s26, 1
	s_addc_u32 s28, s27, 0
	s_add_u32 s2, s5, s22
	s_addc_u32 s3, s28, s23
	s_cmp_eq_u64 s[2:3], 0
	s_cselect_b32 s3, s28, s3
	s_cselect_b32 s2, s5, s2
	s_and_b64 s[22:23], s[2:3], s[26:27]
	s_mul_i32 s5, s23, 24
	s_mul_hi_u32 s23, s22, 24
	s_mul_i32 s22, s22, 24
	s_add_i32 s23, s23, s5
	s_waitcnt vmcnt(0)
	v_lshl_add_u64 v[12:13], v[22:23], 0, s[22:23]
	v_mov_b32_e32 v24, s2
	global_store_dwordx2 v[12:13], v[26:27], off
	v_mov_b32_e32 v25, s3
	buffer_wbl2 sc0 sc1
	s_waitcnt vmcnt(0)
	global_atomic_cmpswap_x2 v[24:25], v11, v[24:27], s[16:17] offset:24 sc0 sc1
	s_waitcnt vmcnt(0)
	v_cmp_ne_u64_e32 vcc, v[24:25], v[26:27]
	s_and_b64 exec, exec, vcc
	s_cbranch_execz .LBB0_225
; %bb.306:                              ;   in Loop: Header=BB0_226 Depth=2
	s_mov_b64 s[22:23], 0
.LBB0_307:                              ;   Parent Loop BB0_39 Depth=1
                                        ;     Parent Loop BB0_226 Depth=2
                                        ; =>    This Inner Loop Header: Depth=3
	s_sleep 1
	global_store_dwordx2 v[12:13], v[24:25], off
	v_mov_b32_e32 v22, s2
	v_mov_b32_e32 v23, s3
	buffer_wbl2 sc0 sc1
	s_waitcnt vmcnt(0)
	global_atomic_cmpswap_x2 v[22:23], v11, v[22:25], s[16:17] offset:24 sc0 sc1
	s_waitcnt vmcnt(0)
	v_cmp_eq_u64_e32 vcc, v[22:23], v[24:25]
	s_or_b64 s[22:23], vcc, s[22:23]
	v_mov_b64_e32 v[24:25], v[22:23]
	s_andn2_b64 exec, exec, s[22:23]
	s_cbranch_execnz .LBB0_307
	s_branch .LBB0_225
.LBB0_308:                              ;   in Loop: Header=BB0_39 Depth=1
	s_branch .LBB0_337
.LBB0_309:                              ;   in Loop: Header=BB0_39 Depth=1
	s_cbranch_execz .LBB0_337
; %bb.310:                              ;   in Loop: Header=BB0_39 Depth=1
	v_readfirstlane_b32 s2, v52
	v_mov_b64_e32 v[12:13], 0
	s_nop 0
	v_cmp_eq_u32_e64 s[2:3], s2, v52
	s_and_saveexec_b64 s[6:7], s[2:3]
	s_cbranch_execz .LBB0_316
; %bb.311:                              ;   in Loop: Header=BB0_39 Depth=1
	global_load_dwordx2 v[22:23], v11, s[16:17] offset:24 sc0 sc1
	s_waitcnt vmcnt(0)
	buffer_inv sc0 sc1
	global_load_dwordx2 v[12:13], v11, s[16:17] offset:40
	global_load_dwordx2 v[20:21], v11, s[16:17]
	s_waitcnt vmcnt(1)
	v_and_b32_e32 v10, v12, v22
	v_and_b32_e32 v12, v13, v23
	v_mul_lo_u32 v12, v12, 24
	v_mul_hi_u32 v13, v10, 24
	v_add_u32_e32 v13, v13, v12
	v_mul_lo_u32 v12, v10, 24
	s_waitcnt vmcnt(0)
	v_lshl_add_u64 v[12:13], v[20:21], 0, v[12:13]
	global_load_dwordx2 v[20:21], v[12:13], off sc0 sc1
	s_waitcnt vmcnt(0)
	global_atomic_cmpswap_x2 v[12:13], v11, v[20:23], s[16:17] offset:24 sc0 sc1
	s_waitcnt vmcnt(0)
	buffer_inv sc0 sc1
	v_cmp_ne_u64_e32 vcc, v[12:13], v[22:23]
	s_and_saveexec_b64 s[18:19], vcc
	s_cbranch_execz .LBB0_315
; %bb.312:                              ;   in Loop: Header=BB0_39 Depth=1
	s_mov_b64 s[20:21], 0
.LBB0_313:                              ;   Parent Loop BB0_39 Depth=1
                                        ; =>  This Inner Loop Header: Depth=2
	s_sleep 1
	global_load_dwordx2 v[20:21], v11, s[16:17] offset:40
	global_load_dwordx2 v[24:25], v11, s[16:17]
	v_mov_b64_e32 v[22:23], v[12:13]
	s_waitcnt vmcnt(1)
	v_and_b32_e32 v10, v20, v22
	s_waitcnt vmcnt(0)
	v_mad_u64_u32 v[12:13], s[22:23], v10, 24, v[24:25]
	v_and_b32_e32 v21, v21, v23
	v_mov_b32_e32 v10, v13
	v_mad_u64_u32 v[20:21], s[22:23], v21, 24, v[10:11]
	v_mov_b32_e32 v13, v20
	global_load_dwordx2 v[20:21], v[12:13], off sc0 sc1
	s_waitcnt vmcnt(0)
	global_atomic_cmpswap_x2 v[12:13], v11, v[20:23], s[16:17] offset:24 sc0 sc1
	s_waitcnt vmcnt(0)
	buffer_inv sc0 sc1
	v_cmp_eq_u64_e32 vcc, v[12:13], v[22:23]
	s_or_b64 s[20:21], vcc, s[20:21]
	s_andn2_b64 exec, exec, s[20:21]
	s_cbranch_execnz .LBB0_313
; %bb.314:                              ;   in Loop: Header=BB0_39 Depth=1
	s_or_b64 exec, exec, s[20:21]
.LBB0_315:                              ;   in Loop: Header=BB0_39 Depth=1
	s_or_b64 exec, exec, s[18:19]
.LBB0_316:                              ;   in Loop: Header=BB0_39 Depth=1
	s_or_b64 exec, exec, s[6:7]
	global_load_dwordx2 v[24:25], v11, s[16:17] offset:40
	global_load_dwordx4 v[20:23], v11, s[16:17]
	v_readfirstlane_b32 s19, v13
	v_readfirstlane_b32 s18, v12
	s_mov_b64 s[6:7], exec
	s_waitcnt vmcnt(1)
	v_readfirstlane_b32 s20, v24
	v_readfirstlane_b32 s21, v25
	s_and_b64 s[20:21], s[20:21], s[18:19]
	s_mul_i32 s5, s21, 24
	s_mul_hi_u32 s22, s20, 24
	s_add_i32 s23, s22, s5
	s_mul_i32 s22, s20, 24
	s_waitcnt vmcnt(0)
	v_lshl_add_u64 v[24:25], v[20:21], 0, s[22:23]
	s_and_saveexec_b64 s[22:23], s[2:3]
	s_cbranch_execz .LBB0_318
; %bb.317:                              ;   in Loop: Header=BB0_39 Depth=1
	v_mov_b64_e32 v[12:13], s[6:7]
	global_store_dwordx4 v[24:25], v[12:15], off offset:8
.LBB0_318:                              ;   in Loop: Header=BB0_39 Depth=1
	s_or_b64 exec, exec, s[22:23]
	s_lshl_b64 s[6:7], s[20:21], 12
	v_lshl_add_u64 v[12:13], v[22:23], 0, s[6:7]
	s_mov_b32 s6, s4
	s_mov_b32 s7, s4
	;; [unrolled: 1-line block ×3, first 2 shown]
	v_mov_b64_e32 v[28:29], s[6:7]
	v_and_or_b32 v8, v8, s40, 34
	v_mov_b32_e32 v10, v11
	v_readfirstlane_b32 s20, v12
	v_readfirstlane_b32 s21, v13
	v_mov_b64_e32 v[26:27], s[4:5]
	s_nop 3
	global_store_dwordx4 v48, v[8:11], s[20:21]
	global_store_dwordx4 v48, v[26:29], s[20:21] offset:16
	global_store_dwordx4 v48, v[26:29], s[20:21] offset:32
	;; [unrolled: 1-line block ×3, first 2 shown]
	s_and_saveexec_b64 s[6:7], s[2:3]
	s_cbranch_execz .LBB0_326
; %bb.319:                              ;   in Loop: Header=BB0_39 Depth=1
	global_load_dwordx2 v[28:29], v11, s[16:17] offset:32 sc0 sc1
	global_load_dwordx2 v[8:9], v11, s[16:17] offset:40
	v_mov_b32_e32 v26, s18
	v_mov_b32_e32 v27, s19
	s_waitcnt vmcnt(0)
	v_readfirstlane_b32 s20, v8
	v_readfirstlane_b32 s21, v9
	s_and_b64 s[20:21], s[20:21], s[18:19]
	s_mul_i32 s5, s21, 24
	s_mul_hi_u32 s21, s20, 24
	s_mul_i32 s20, s20, 24
	s_add_i32 s21, s21, s5
	v_lshl_add_u64 v[8:9], v[20:21], 0, s[20:21]
	global_store_dwordx2 v[8:9], v[28:29], off
	buffer_wbl2 sc0 sc1
	s_waitcnt vmcnt(0)
	global_atomic_cmpswap_x2 v[22:23], v11, v[26:29], s[16:17] offset:32 sc0 sc1
	s_waitcnt vmcnt(0)
	v_cmp_ne_u64_e32 vcc, v[22:23], v[28:29]
	s_and_saveexec_b64 s[20:21], vcc
	s_cbranch_execz .LBB0_322
; %bb.320:                              ;   in Loop: Header=BB0_39 Depth=1
	s_mov_b64 s[22:23], 0
.LBB0_321:                              ;   Parent Loop BB0_39 Depth=1
                                        ; =>  This Inner Loop Header: Depth=2
	s_sleep 1
	global_store_dwordx2 v[8:9], v[22:23], off
	v_mov_b32_e32 v20, s18
	v_mov_b32_e32 v21, s19
	buffer_wbl2 sc0 sc1
	s_waitcnt vmcnt(0)
	global_atomic_cmpswap_x2 v[12:13], v11, v[20:23], s[16:17] offset:32 sc0 sc1
	s_waitcnt vmcnt(0)
	v_cmp_eq_u64_e32 vcc, v[12:13], v[22:23]
	s_or_b64 s[22:23], vcc, s[22:23]
	v_mov_b64_e32 v[22:23], v[12:13]
	s_andn2_b64 exec, exec, s[22:23]
	s_cbranch_execnz .LBB0_321
.LBB0_322:                              ;   in Loop: Header=BB0_39 Depth=1
	s_or_b64 exec, exec, s[20:21]
	global_load_dwordx2 v[8:9], v11, s[16:17] offset:16
	s_mov_b64 s[22:23], exec
	v_mbcnt_lo_u32_b32 v10, s22, 0
	v_mbcnt_hi_u32_b32 v10, s23, v10
	v_cmp_eq_u32_e32 vcc, 0, v10
	s_and_saveexec_b64 s[20:21], vcc
	s_cbranch_execz .LBB0_324
; %bb.323:                              ;   in Loop: Header=BB0_39 Depth=1
	s_bcnt1_i32_b64 s5, s[22:23]
	v_mov_b32_e32 v10, s5
	buffer_wbl2 sc0 sc1
	s_waitcnt vmcnt(0)
	global_atomic_add_x2 v[8:9], v[10:11], off offset:8 sc1
.LBB0_324:                              ;   in Loop: Header=BB0_39 Depth=1
	s_or_b64 exec, exec, s[20:21]
	s_waitcnt vmcnt(0)
	global_load_dwordx2 v[12:13], v[8:9], off offset:16
	s_waitcnt vmcnt(0)
	v_cmp_eq_u64_e32 vcc, 0, v[12:13]
	s_cbranch_vccnz .LBB0_326
; %bb.325:                              ;   in Loop: Header=BB0_39 Depth=1
	global_load_dword v10, v[8:9], off offset:24
	s_waitcnt vmcnt(0)
	v_readfirstlane_b32 s5, v10
	s_and_b32 m0, s5, 0xffffff
	buffer_wbl2 sc0 sc1
	global_store_dwordx2 v[12:13], v[10:11], off sc0 sc1
	s_sendmsg sendmsg(MSG_INTERRUPT)
.LBB0_326:                              ;   in Loop: Header=BB0_39 Depth=1
	s_or_b64 exec, exec, s[6:7]
	s_branch .LBB0_330
.LBB0_327:                              ;   in Loop: Header=BB0_330 Depth=2
	s_or_b64 exec, exec, s[6:7]
	v_readfirstlane_b32 s5, v8
	s_cmp_eq_u32 s5, 0
	s_cbranch_scc1 .LBB0_329
; %bb.328:                              ;   in Loop: Header=BB0_330 Depth=2
	s_sleep 1
	s_cbranch_execnz .LBB0_330
	s_branch .LBB0_332
.LBB0_329:                              ;   in Loop: Header=BB0_39 Depth=1
	s_branch .LBB0_332
.LBB0_330:                              ;   Parent Loop BB0_39 Depth=1
                                        ; =>  This Inner Loop Header: Depth=2
	v_mov_b32_e32 v8, 1
	s_and_saveexec_b64 s[6:7], s[2:3]
	s_cbranch_execz .LBB0_327
; %bb.331:                              ;   in Loop: Header=BB0_330 Depth=2
	global_load_dword v8, v[24:25], off offset:20 sc0 sc1
	s_waitcnt vmcnt(0)
	buffer_inv sc0 sc1
	v_and_b32_e32 v8, 1, v8
	s_branch .LBB0_327
.LBB0_332:                              ;   in Loop: Header=BB0_39 Depth=1
	s_and_saveexec_b64 s[6:7], s[2:3]
	s_cbranch_execz .LBB0_336
; %bb.333:                              ;   in Loop: Header=BB0_39 Depth=1
	global_load_dwordx2 v[8:9], v11, s[16:17] offset:40
	global_load_dwordx2 v[24:25], v11, s[16:17] offset:24 sc0 sc1
	global_load_dwordx2 v[12:13], v11, s[16:17]
	s_waitcnt vmcnt(2)
	v_readfirstlane_b32 s20, v8
	v_readfirstlane_b32 s21, v9
	s_add_u32 s5, s20, 1
	s_addc_u32 s22, s21, 0
	s_add_u32 s2, s5, s18
	s_addc_u32 s3, s22, s19
	s_cmp_eq_u64 s[2:3], 0
	s_cselect_b32 s3, s22, s3
	s_cselect_b32 s2, s5, s2
	s_and_b64 s[18:19], s[2:3], s[20:21]
	s_mul_i32 s5, s19, 24
	s_mul_hi_u32 s19, s18, 24
	s_mul_i32 s18, s18, 24
	s_add_i32 s19, s19, s5
	s_waitcnt vmcnt(0)
	v_lshl_add_u64 v[8:9], v[12:13], 0, s[18:19]
	v_mov_b32_e32 v22, s2
	global_store_dwordx2 v[8:9], v[24:25], off
	v_mov_b32_e32 v23, s3
	buffer_wbl2 sc0 sc1
	s_waitcnt vmcnt(0)
	global_atomic_cmpswap_x2 v[22:23], v11, v[22:25], s[16:17] offset:24 sc0 sc1
	s_waitcnt vmcnt(0)
	v_cmp_ne_u64_e32 vcc, v[22:23], v[24:25]
	s_and_b64 exec, exec, vcc
	s_cbranch_execz .LBB0_336
; %bb.334:                              ;   in Loop: Header=BB0_39 Depth=1
	s_mov_b64 s[18:19], 0
.LBB0_335:                              ;   Parent Loop BB0_39 Depth=1
                                        ; =>  This Inner Loop Header: Depth=2
	s_sleep 1
	global_store_dwordx2 v[8:9], v[22:23], off
	v_mov_b32_e32 v20, s2
	v_mov_b32_e32 v21, s3
	buffer_wbl2 sc0 sc1
	s_waitcnt vmcnt(0)
	global_atomic_cmpswap_x2 v[12:13], v11, v[20:23], s[16:17] offset:24 sc0 sc1
	s_waitcnt vmcnt(0)
	v_cmp_eq_u64_e32 vcc, v[12:13], v[22:23]
	s_or_b64 s[18:19], vcc, s[18:19]
	v_mov_b64_e32 v[22:23], v[12:13]
	s_andn2_b64 exec, exec, s[18:19]
	s_cbranch_execnz .LBB0_335
.LBB0_336:                              ;   in Loop: Header=BB0_39 Depth=1
	s_or_b64 exec, exec, s[6:7]
.LBB0_337:                              ;   in Loop: Header=BB0_39 Depth=1
	v_readfirstlane_b32 s2, v52
	s_waitcnt vmcnt(0)
	v_mov_b64_e32 v[8:9], 0
	v_cmp_eq_u32_e64 s[2:3], s2, v52
	s_and_saveexec_b64 s[6:7], s[2:3]
	s_cbranch_execz .LBB0_343
; %bb.338:                              ;   in Loop: Header=BB0_39 Depth=1
	global_load_dwordx2 v[22:23], v11, s[16:17] offset:24 sc0 sc1
	s_waitcnt vmcnt(0)
	buffer_inv sc0 sc1
	global_load_dwordx2 v[8:9], v11, s[16:17] offset:40
	global_load_dwordx2 v[12:13], v11, s[16:17]
	s_waitcnt vmcnt(1)
	v_and_b32_e32 v8, v8, v22
	v_and_b32_e32 v9, v9, v23
	v_mul_lo_u32 v9, v9, 24
	v_mul_hi_u32 v10, v8, 24
	v_add_u32_e32 v9, v10, v9
	v_mul_lo_u32 v8, v8, 24
	s_waitcnt vmcnt(0)
	v_lshl_add_u64 v[8:9], v[12:13], 0, v[8:9]
	global_load_dwordx2 v[20:21], v[8:9], off sc0 sc1
	s_waitcnt vmcnt(0)
	global_atomic_cmpswap_x2 v[8:9], v11, v[20:23], s[16:17] offset:24 sc0 sc1
	s_waitcnt vmcnt(0)
	buffer_inv sc0 sc1
	v_cmp_ne_u64_e32 vcc, v[8:9], v[22:23]
	s_and_saveexec_b64 s[18:19], vcc
	s_cbranch_execz .LBB0_342
; %bb.339:                              ;   in Loop: Header=BB0_39 Depth=1
	s_mov_b64 s[20:21], 0
.LBB0_340:                              ;   Parent Loop BB0_39 Depth=1
                                        ; =>  This Inner Loop Header: Depth=2
	s_sleep 1
	global_load_dwordx2 v[12:13], v11, s[16:17] offset:40
	global_load_dwordx2 v[20:21], v11, s[16:17]
	v_mov_b64_e32 v[22:23], v[8:9]
	s_waitcnt vmcnt(1)
	v_and_b32_e32 v8, v12, v22
	s_waitcnt vmcnt(0)
	v_mad_u64_u32 v[8:9], s[22:23], v8, 24, v[20:21]
	v_and_b32_e32 v13, v13, v23
	v_mov_b32_e32 v10, v9
	v_mad_u64_u32 v[12:13], s[22:23], v13, 24, v[10:11]
	v_mov_b32_e32 v9, v12
	global_load_dwordx2 v[20:21], v[8:9], off sc0 sc1
	s_waitcnt vmcnt(0)
	global_atomic_cmpswap_x2 v[8:9], v11, v[20:23], s[16:17] offset:24 sc0 sc1
	s_waitcnt vmcnt(0)
	buffer_inv sc0 sc1
	v_cmp_eq_u64_e32 vcc, v[8:9], v[22:23]
	s_or_b64 s[20:21], vcc, s[20:21]
	s_andn2_b64 exec, exec, s[20:21]
	s_cbranch_execnz .LBB0_340
; %bb.341:                              ;   in Loop: Header=BB0_39 Depth=1
	s_or_b64 exec, exec, s[20:21]
.LBB0_342:                              ;   in Loop: Header=BB0_39 Depth=1
	s_or_b64 exec, exec, s[18:19]
.LBB0_343:                              ;   in Loop: Header=BB0_39 Depth=1
	s_or_b64 exec, exec, s[6:7]
	global_load_dwordx2 v[12:13], v11, s[16:17] offset:40
	global_load_dwordx4 v[20:23], v11, s[16:17]
	v_readfirstlane_b32 s19, v9
	v_readfirstlane_b32 s18, v8
	s_mov_b64 s[6:7], exec
	s_waitcnt vmcnt(1)
	v_readfirstlane_b32 s20, v12
	v_readfirstlane_b32 s21, v13
	s_and_b64 s[20:21], s[20:21], s[18:19]
	s_mul_i32 s5, s21, 24
	s_mul_hi_u32 s22, s20, 24
	s_add_i32 s23, s22, s5
	s_mul_i32 s22, s20, 24
	s_waitcnt vmcnt(0)
	v_lshl_add_u64 v[8:9], v[20:21], 0, s[22:23]
	s_and_saveexec_b64 s[22:23], s[2:3]
	s_cbranch_execz .LBB0_345
; %bb.344:                              ;   in Loop: Header=BB0_39 Depth=1
	v_mov_b64_e32 v[12:13], s[6:7]
	global_store_dwordx4 v[8:9], v[12:15], off offset:8
.LBB0_345:                              ;   in Loop: Header=BB0_39 Depth=1
	s_or_b64 exec, exec, s[22:23]
	s_lshl_b64 s[6:7], s[20:21], 12
	v_lshl_add_u64 v[12:13], v[22:23], 0, s[6:7]
	s_mov_b32 s6, s4
	s_mov_b32 s7, s4
	;; [unrolled: 1-line block ×3, first 2 shown]
	v_mov_b64_e32 v[24:25], s[6:7]
	v_readfirstlane_b32 s20, v12
	v_readfirstlane_b32 s21, v13
	v_mov_b64_e32 v[22:23], s[4:5]
	s_nop 3
	global_store_dwordx4 v48, v[16:19], s[20:21]
	global_store_dwordx4 v48, v[22:25], s[20:21] offset:16
	global_store_dwordx4 v48, v[22:25], s[20:21] offset:32
	;; [unrolled: 1-line block ×3, first 2 shown]
	s_and_saveexec_b64 s[6:7], s[2:3]
	s_cbranch_execz .LBB0_353
; %bb.346:                              ;   in Loop: Header=BB0_39 Depth=1
	global_load_dwordx2 v[28:29], v11, s[16:17] offset:32 sc0 sc1
	global_load_dwordx2 v[22:23], v11, s[16:17] offset:40
	v_mov_b32_e32 v26, s18
	v_mov_b32_e32 v27, s19
	s_waitcnt vmcnt(0)
	v_readfirstlane_b32 s20, v22
	v_readfirstlane_b32 s21, v23
	s_and_b64 s[20:21], s[20:21], s[18:19]
	s_mul_i32 s5, s21, 24
	s_mul_hi_u32 s21, s20, 24
	s_mul_i32 s20, s20, 24
	s_add_i32 s21, s21, s5
	v_lshl_add_u64 v[24:25], v[20:21], 0, s[20:21]
	global_store_dwordx2 v[24:25], v[28:29], off
	buffer_wbl2 sc0 sc1
	s_waitcnt vmcnt(0)
	global_atomic_cmpswap_x2 v[22:23], v11, v[26:29], s[16:17] offset:32 sc0 sc1
	s_waitcnt vmcnt(0)
	v_cmp_ne_u64_e32 vcc, v[22:23], v[28:29]
	s_and_saveexec_b64 s[20:21], vcc
	s_cbranch_execz .LBB0_349
; %bb.347:                              ;   in Loop: Header=BB0_39 Depth=1
	s_mov_b64 s[22:23], 0
.LBB0_348:                              ;   Parent Loop BB0_39 Depth=1
                                        ; =>  This Inner Loop Header: Depth=2
	s_sleep 1
	global_store_dwordx2 v[24:25], v[22:23], off
	v_mov_b32_e32 v20, s18
	v_mov_b32_e32 v21, s19
	buffer_wbl2 sc0 sc1
	s_waitcnt vmcnt(0)
	global_atomic_cmpswap_x2 v[20:21], v11, v[20:23], s[16:17] offset:32 sc0 sc1
	s_waitcnt vmcnt(0)
	v_cmp_eq_u64_e32 vcc, v[20:21], v[22:23]
	s_or_b64 s[22:23], vcc, s[22:23]
	v_mov_b64_e32 v[22:23], v[20:21]
	s_andn2_b64 exec, exec, s[22:23]
	s_cbranch_execnz .LBB0_348
.LBB0_349:                              ;   in Loop: Header=BB0_39 Depth=1
	s_or_b64 exec, exec, s[20:21]
	global_load_dwordx2 v[20:21], v11, s[16:17] offset:16
	s_mov_b64 s[22:23], exec
	v_mbcnt_lo_u32_b32 v10, s22, 0
	v_mbcnt_hi_u32_b32 v10, s23, v10
	v_cmp_eq_u32_e32 vcc, 0, v10
	s_and_saveexec_b64 s[20:21], vcc
	s_cbranch_execz .LBB0_351
; %bb.350:                              ;   in Loop: Header=BB0_39 Depth=1
	s_bcnt1_i32_b64 s5, s[22:23]
	v_mov_b32_e32 v10, s5
	buffer_wbl2 sc0 sc1
	s_waitcnt vmcnt(0)
	global_atomic_add_x2 v[20:21], v[10:11], off offset:8 sc1
.LBB0_351:                              ;   in Loop: Header=BB0_39 Depth=1
	s_or_b64 exec, exec, s[20:21]
	s_waitcnt vmcnt(0)
	global_load_dwordx2 v[22:23], v[20:21], off offset:16
	s_waitcnt vmcnt(0)
	v_cmp_eq_u64_e32 vcc, 0, v[22:23]
	s_cbranch_vccnz .LBB0_353
; %bb.352:                              ;   in Loop: Header=BB0_39 Depth=1
	global_load_dword v10, v[20:21], off offset:24
	s_waitcnt vmcnt(0)
	v_readfirstlane_b32 s5, v10
	s_and_b32 m0, s5, 0xffffff
	buffer_wbl2 sc0 sc1
	global_store_dwordx2 v[22:23], v[10:11], off sc0 sc1
	s_sendmsg sendmsg(MSG_INTERRUPT)
.LBB0_353:                              ;   in Loop: Header=BB0_39 Depth=1
	s_or_b64 exec, exec, s[6:7]
	v_mov_b32_e32 v49, v11
	v_lshl_add_u64 v[12:13], v[12:13], 0, v[48:49]
	s_branch .LBB0_357
.LBB0_354:                              ;   in Loop: Header=BB0_357 Depth=2
	s_or_b64 exec, exec, s[6:7]
	v_readfirstlane_b32 s5, v10
	s_cmp_eq_u32 s5, 0
	s_cbranch_scc1 .LBB0_356
; %bb.355:                              ;   in Loop: Header=BB0_357 Depth=2
	s_sleep 1
	s_cbranch_execnz .LBB0_357
	s_branch .LBB0_359
.LBB0_356:                              ;   in Loop: Header=BB0_39 Depth=1
	s_branch .LBB0_359
.LBB0_357:                              ;   Parent Loop BB0_39 Depth=1
                                        ; =>  This Inner Loop Header: Depth=2
	v_mov_b32_e32 v10, 1
	s_and_saveexec_b64 s[6:7], s[2:3]
	s_cbranch_execz .LBB0_354
; %bb.358:                              ;   in Loop: Header=BB0_357 Depth=2
	global_load_dword v10, v[8:9], off offset:20 sc0 sc1
	s_waitcnt vmcnt(0)
	buffer_inv sc0 sc1
	v_and_b32_e32 v10, 1, v10
	s_branch .LBB0_354
.LBB0_359:                              ;   in Loop: Header=BB0_39 Depth=1
	global_load_dwordx2 v[8:9], v[12:13], off
	s_and_saveexec_b64 s[6:7], s[2:3]
	s_cbranch_execz .LBB0_363
; %bb.360:                              ;   in Loop: Header=BB0_39 Depth=1
	global_load_dwordx2 v[12:13], v11, s[16:17] offset:40
	global_load_dwordx2 v[24:25], v11, s[16:17] offset:24 sc0 sc1
	global_load_dwordx2 v[20:21], v11, s[16:17]
	s_waitcnt vmcnt(2)
	v_readfirstlane_b32 s20, v12
	v_readfirstlane_b32 s21, v13
	s_add_u32 s5, s20, 1
	s_addc_u32 s22, s21, 0
	s_add_u32 s2, s5, s18
	s_addc_u32 s3, s22, s19
	s_cmp_eq_u64 s[2:3], 0
	s_cselect_b32 s3, s22, s3
	s_cselect_b32 s2, s5, s2
	s_and_b64 s[18:19], s[2:3], s[20:21]
	s_mul_i32 s5, s19, 24
	s_mul_hi_u32 s19, s18, 24
	s_mul_i32 s18, s18, 24
	s_add_i32 s19, s19, s5
	s_waitcnt vmcnt(0)
	v_lshl_add_u64 v[12:13], v[20:21], 0, s[18:19]
	v_mov_b32_e32 v22, s2
	global_store_dwordx2 v[12:13], v[24:25], off
	v_mov_b32_e32 v23, s3
	buffer_wbl2 sc0 sc1
	s_waitcnt vmcnt(0)
	global_atomic_cmpswap_x2 v[22:23], v11, v[22:25], s[16:17] offset:24 sc0 sc1
	s_waitcnt vmcnt(0)
	v_cmp_ne_u64_e32 vcc, v[22:23], v[24:25]
	s_and_b64 exec, exec, vcc
	s_cbranch_execz .LBB0_363
; %bb.361:                              ;   in Loop: Header=BB0_39 Depth=1
	s_mov_b64 s[18:19], 0
.LBB0_362:                              ;   Parent Loop BB0_39 Depth=1
                                        ; =>  This Inner Loop Header: Depth=2
	s_sleep 1
	global_store_dwordx2 v[12:13], v[22:23], off
	v_mov_b32_e32 v20, s2
	v_mov_b32_e32 v21, s3
	buffer_wbl2 sc0 sc1
	s_waitcnt vmcnt(0)
	global_atomic_cmpswap_x2 v[20:21], v11, v[20:23], s[16:17] offset:24 sc0 sc1
	s_waitcnt vmcnt(0)
	v_cmp_eq_u64_e32 vcc, v[20:21], v[22:23]
	s_or_b64 s[18:19], vcc, s[18:19]
	v_mov_b64_e32 v[22:23], v[20:21]
	s_andn2_b64 exec, exec, s[18:19]
	s_cbranch_execnz .LBB0_362
.LBB0_363:                              ;   in Loop: Header=BB0_39 Depth=1
	s_or_b64 exec, exec, s[6:7]
	s_and_b64 vcc, exec, s[10:11]
	s_cbranch_vccz .LBB0_449
; %bb.364:                              ;   in Loop: Header=BB0_39 Depth=1
	s_waitcnt vmcnt(0)
	v_and_b32_e32 v20, -3, v8
	v_mov_b32_e32 v21, v9
	s_mov_b64 s[18:19], 39
	s_getpc_b64 s[6:7]
	s_add_u32 s6, s6, .str.2@rel32@lo+4
	s_addc_u32 s7, s7, .str.2@rel32@hi+12
	s_branch .LBB0_366
.LBB0_365:                              ;   in Loop: Header=BB0_366 Depth=2
	s_or_b64 exec, exec, s[24:25]
	s_sub_u32 s18, s18, s20
	s_subb_u32 s19, s19, s21
	s_add_u32 s6, s6, s20
	s_addc_u32 s7, s7, s21
	s_cmp_eq_u64 s[18:19], 0
	s_cbranch_scc1 .LBB0_448
.LBB0_366:                              ;   Parent Loop BB0_39 Depth=1
                                        ; =>  This Loop Header: Depth=2
                                        ;       Child Loop BB0_369 Depth 3
                                        ;       Child Loop BB0_377 Depth 3
	;; [unrolled: 1-line block ×11, first 2 shown]
	v_cmp_lt_u64_e64 s[2:3], s[18:19], 56
	s_and_b64 s[2:3], s[2:3], exec
	s_cselect_b32 s21, s19, 0
	s_cselect_b32 s20, s18, 56
	v_cmp_gt_u64_e64 s[22:23], s[18:19], 7
	s_add_u32 s2, s6, 8
	s_addc_u32 s3, s7, 0
	s_and_b64 vcc, exec, s[22:23]
	s_cbranch_vccnz .LBB0_370
; %bb.367:                              ;   in Loop: Header=BB0_366 Depth=2
	s_cmp_eq_u64 s[18:19], 0
	s_cbranch_scc1 .LBB0_371
; %bb.368:                              ;   in Loop: Header=BB0_366 Depth=2
	s_lshl_b64 s[2:3], s[20:21], 3
	s_mov_b64 s[22:23], 0
	s_waitcnt vmcnt(0)
	v_mov_b64_e32 v[22:23], 0
	s_mov_b64 s[24:25], s[6:7]
.LBB0_369:                              ;   Parent Loop BB0_39 Depth=1
                                        ;     Parent Loop BB0_366 Depth=2
                                        ; =>    This Inner Loop Header: Depth=3
	global_load_ubyte v10, v11, s[24:25]
	s_waitcnt vmcnt(0)
	v_and_b32_e32 v10, 0xffff, v10
	v_lshlrev_b64 v[12:13], s22, v[10:11]
	s_add_u32 s22, s22, 8
	s_addc_u32 s23, s23, 0
	s_add_u32 s24, s24, 1
	s_addc_u32 s25, s25, 0
	v_or_b32_e32 v22, v12, v22
	s_cmp_lg_u32 s2, s22
	v_or_b32_e32 v23, v13, v23
	s_cbranch_scc1 .LBB0_369
	s_branch .LBB0_372
.LBB0_370:                              ;   in Loop: Header=BB0_366 Depth=2
	s_mov_b32 s5, 0
	s_branch .LBB0_373
.LBB0_371:                              ;   in Loop: Header=BB0_366 Depth=2
	s_waitcnt vmcnt(0)
	v_mov_b64_e32 v[22:23], 0
.LBB0_372:                              ;   in Loop: Header=BB0_366 Depth=2
	s_mov_b64 s[2:3], s[6:7]
	s_mov_b32 s5, 0
	s_cbranch_execnz .LBB0_374
.LBB0_373:                              ;   in Loop: Header=BB0_366 Depth=2
	global_load_dwordx2 v[22:23], v11, s[6:7]
	s_add_i32 s5, s20, -8
.LBB0_374:                              ;   in Loop: Header=BB0_366 Depth=2
	s_add_u32 s22, s2, 8
	s_addc_u32 s23, s3, 0
	s_cmp_gt_u32 s5, 7
	s_cbranch_scc1 .LBB0_378
; %bb.375:                              ;   in Loop: Header=BB0_366 Depth=2
	s_cmp_eq_u32 s5, 0
	s_cbranch_scc1 .LBB0_379
; %bb.376:                              ;   in Loop: Header=BB0_366 Depth=2
	s_mov_b64 s[22:23], 0
	v_mov_b64_e32 v[24:25], 0
	s_mov_b64 s[24:25], 0
.LBB0_377:                              ;   Parent Loop BB0_39 Depth=1
                                        ;     Parent Loop BB0_366 Depth=2
                                        ; =>    This Inner Loop Header: Depth=3
	s_add_u32 s26, s2, s24
	s_addc_u32 s27, s3, s25
	global_load_ubyte v10, v11, s[26:27]
	s_add_u32 s24, s24, 1
	s_addc_u32 s25, s25, 0
	s_waitcnt vmcnt(0)
	v_and_b32_e32 v10, 0xffff, v10
	v_lshlrev_b64 v[12:13], s22, v[10:11]
	s_add_u32 s22, s22, 8
	s_addc_u32 s23, s23, 0
	v_or_b32_e32 v24, v12, v24
	s_cmp_lg_u32 s5, s24
	v_or_b32_e32 v25, v13, v25
	s_cbranch_scc1 .LBB0_377
	s_branch .LBB0_380
.LBB0_378:                              ;   in Loop: Header=BB0_366 Depth=2
                                        ; implicit-def: $vgpr24_vgpr25
	s_mov_b32 s26, 0
	s_branch .LBB0_381
.LBB0_379:                              ;   in Loop: Header=BB0_366 Depth=2
	v_mov_b64_e32 v[24:25], 0
.LBB0_380:                              ;   in Loop: Header=BB0_366 Depth=2
	s_mov_b64 s[22:23], s[2:3]
	s_mov_b32 s26, 0
	s_cbranch_execnz .LBB0_382
.LBB0_381:                              ;   in Loop: Header=BB0_366 Depth=2
	global_load_dwordx2 v[24:25], v11, s[2:3]
	s_add_i32 s26, s5, -8
.LBB0_382:                              ;   in Loop: Header=BB0_366 Depth=2
	s_add_u32 s2, s22, 8
	s_addc_u32 s3, s23, 0
	s_cmp_gt_u32 s26, 7
	s_cbranch_scc1 .LBB0_386
; %bb.383:                              ;   in Loop: Header=BB0_366 Depth=2
	s_cmp_eq_u32 s26, 0
	s_cbranch_scc1 .LBB0_387
; %bb.384:                              ;   in Loop: Header=BB0_366 Depth=2
	s_mov_b64 s[2:3], 0
	v_mov_b64_e32 v[26:27], 0
	s_mov_b64 s[24:25], 0
.LBB0_385:                              ;   Parent Loop BB0_39 Depth=1
                                        ;     Parent Loop BB0_366 Depth=2
                                        ; =>    This Inner Loop Header: Depth=3
	s_add_u32 s28, s22, s24
	s_addc_u32 s29, s23, s25
	global_load_ubyte v10, v11, s[28:29]
	s_add_u32 s24, s24, 1
	s_addc_u32 s25, s25, 0
	s_waitcnt vmcnt(0)
	v_and_b32_e32 v10, 0xffff, v10
	v_lshlrev_b64 v[12:13], s2, v[10:11]
	s_add_u32 s2, s2, 8
	s_addc_u32 s3, s3, 0
	v_or_b32_e32 v26, v12, v26
	s_cmp_lg_u32 s26, s24
	v_or_b32_e32 v27, v13, v27
	s_cbranch_scc1 .LBB0_385
	s_branch .LBB0_388
.LBB0_386:                              ;   in Loop: Header=BB0_366 Depth=2
	s_mov_b32 s5, 0
	s_branch .LBB0_389
.LBB0_387:                              ;   in Loop: Header=BB0_366 Depth=2
	v_mov_b64_e32 v[26:27], 0
.LBB0_388:                              ;   in Loop: Header=BB0_366 Depth=2
	s_mov_b64 s[2:3], s[22:23]
	s_mov_b32 s5, 0
	s_cbranch_execnz .LBB0_390
.LBB0_389:                              ;   in Loop: Header=BB0_366 Depth=2
	global_load_dwordx2 v[26:27], v11, s[22:23]
	s_add_i32 s5, s26, -8
.LBB0_390:                              ;   in Loop: Header=BB0_366 Depth=2
	s_add_u32 s22, s2, 8
	s_addc_u32 s23, s3, 0
	s_cmp_gt_u32 s5, 7
	s_cbranch_scc1 .LBB0_394
; %bb.391:                              ;   in Loop: Header=BB0_366 Depth=2
	s_cmp_eq_u32 s5, 0
	s_cbranch_scc1 .LBB0_395
; %bb.392:                              ;   in Loop: Header=BB0_366 Depth=2
	s_mov_b64 s[22:23], 0
	v_mov_b64_e32 v[28:29], 0
	s_mov_b64 s[24:25], 0
.LBB0_393:                              ;   Parent Loop BB0_39 Depth=1
                                        ;     Parent Loop BB0_366 Depth=2
                                        ; =>    This Inner Loop Header: Depth=3
	s_add_u32 s26, s2, s24
	s_addc_u32 s27, s3, s25
	global_load_ubyte v10, v11, s[26:27]
	s_add_u32 s24, s24, 1
	s_addc_u32 s25, s25, 0
	s_waitcnt vmcnt(0)
	v_and_b32_e32 v10, 0xffff, v10
	v_lshlrev_b64 v[12:13], s22, v[10:11]
	s_add_u32 s22, s22, 8
	s_addc_u32 s23, s23, 0
	v_or_b32_e32 v28, v12, v28
	s_cmp_lg_u32 s5, s24
	v_or_b32_e32 v29, v13, v29
	s_cbranch_scc1 .LBB0_393
	s_branch .LBB0_396
.LBB0_394:                              ;   in Loop: Header=BB0_366 Depth=2
                                        ; implicit-def: $vgpr28_vgpr29
	s_mov_b32 s26, 0
	s_branch .LBB0_397
.LBB0_395:                              ;   in Loop: Header=BB0_366 Depth=2
	v_mov_b64_e32 v[28:29], 0
.LBB0_396:                              ;   in Loop: Header=BB0_366 Depth=2
	s_mov_b64 s[22:23], s[2:3]
	s_mov_b32 s26, 0
	s_cbranch_execnz .LBB0_398
.LBB0_397:                              ;   in Loop: Header=BB0_366 Depth=2
	global_load_dwordx2 v[28:29], v11, s[2:3]
	s_add_i32 s26, s5, -8
.LBB0_398:                              ;   in Loop: Header=BB0_366 Depth=2
	s_add_u32 s2, s22, 8
	s_addc_u32 s3, s23, 0
	s_cmp_gt_u32 s26, 7
	s_cbranch_scc1 .LBB0_402
; %bb.399:                              ;   in Loop: Header=BB0_366 Depth=2
	s_cmp_eq_u32 s26, 0
	s_cbranch_scc1 .LBB0_403
; %bb.400:                              ;   in Loop: Header=BB0_366 Depth=2
	s_mov_b64 s[2:3], 0
	v_mov_b64_e32 v[30:31], 0
	s_mov_b64 s[24:25], 0
.LBB0_401:                              ;   Parent Loop BB0_39 Depth=1
                                        ;     Parent Loop BB0_366 Depth=2
                                        ; =>    This Inner Loop Header: Depth=3
	s_add_u32 s28, s22, s24
	s_addc_u32 s29, s23, s25
	global_load_ubyte v10, v11, s[28:29]
	s_add_u32 s24, s24, 1
	s_addc_u32 s25, s25, 0
	s_waitcnt vmcnt(0)
	v_and_b32_e32 v10, 0xffff, v10
	v_lshlrev_b64 v[12:13], s2, v[10:11]
	s_add_u32 s2, s2, 8
	s_addc_u32 s3, s3, 0
	v_or_b32_e32 v30, v12, v30
	s_cmp_lg_u32 s26, s24
	v_or_b32_e32 v31, v13, v31
	s_cbranch_scc1 .LBB0_401
	s_branch .LBB0_404
.LBB0_402:                              ;   in Loop: Header=BB0_366 Depth=2
	s_mov_b32 s5, 0
	s_branch .LBB0_405
.LBB0_403:                              ;   in Loop: Header=BB0_366 Depth=2
	v_mov_b64_e32 v[30:31], 0
.LBB0_404:                              ;   in Loop: Header=BB0_366 Depth=2
	s_mov_b64 s[2:3], s[22:23]
	s_mov_b32 s5, 0
	s_cbranch_execnz .LBB0_406
.LBB0_405:                              ;   in Loop: Header=BB0_366 Depth=2
	global_load_dwordx2 v[30:31], v11, s[22:23]
	s_add_i32 s5, s26, -8
.LBB0_406:                              ;   in Loop: Header=BB0_366 Depth=2
	s_add_u32 s22, s2, 8
	s_addc_u32 s23, s3, 0
	s_cmp_gt_u32 s5, 7
	s_cbranch_scc1 .LBB0_410
; %bb.407:                              ;   in Loop: Header=BB0_366 Depth=2
	s_cmp_eq_u32 s5, 0
	s_cbranch_scc1 .LBB0_411
; %bb.408:                              ;   in Loop: Header=BB0_366 Depth=2
	s_mov_b64 s[22:23], 0
	v_mov_b64_e32 v[32:33], 0
	s_mov_b64 s[24:25], 0
.LBB0_409:                              ;   Parent Loop BB0_39 Depth=1
                                        ;     Parent Loop BB0_366 Depth=2
                                        ; =>    This Inner Loop Header: Depth=3
	s_add_u32 s26, s2, s24
	s_addc_u32 s27, s3, s25
	global_load_ubyte v10, v11, s[26:27]
	s_add_u32 s24, s24, 1
	s_addc_u32 s25, s25, 0
	s_waitcnt vmcnt(0)
	v_and_b32_e32 v10, 0xffff, v10
	v_lshlrev_b64 v[12:13], s22, v[10:11]
	s_add_u32 s22, s22, 8
	s_addc_u32 s23, s23, 0
	v_or_b32_e32 v32, v12, v32
	s_cmp_lg_u32 s5, s24
	v_or_b32_e32 v33, v13, v33
	s_cbranch_scc1 .LBB0_409
	s_branch .LBB0_412
.LBB0_410:                              ;   in Loop: Header=BB0_366 Depth=2
                                        ; implicit-def: $vgpr32_vgpr33
	s_mov_b32 s26, 0
	s_branch .LBB0_413
.LBB0_411:                              ;   in Loop: Header=BB0_366 Depth=2
	v_mov_b64_e32 v[32:33], 0
.LBB0_412:                              ;   in Loop: Header=BB0_366 Depth=2
	s_mov_b64 s[22:23], s[2:3]
	s_mov_b32 s26, 0
	s_cbranch_execnz .LBB0_414
.LBB0_413:                              ;   in Loop: Header=BB0_366 Depth=2
	global_load_dwordx2 v[32:33], v11, s[2:3]
	s_add_i32 s26, s5, -8
.LBB0_414:                              ;   in Loop: Header=BB0_366 Depth=2
	s_cmp_gt_u32 s26, 7
	s_cbranch_scc1 .LBB0_418
; %bb.415:                              ;   in Loop: Header=BB0_366 Depth=2
	s_cmp_eq_u32 s26, 0
	s_cbranch_scc1 .LBB0_419
; %bb.416:                              ;   in Loop: Header=BB0_366 Depth=2
	s_mov_b64 s[2:3], 0
	v_mov_b64_e32 v[34:35], 0
	s_mov_b64 s[24:25], s[22:23]
.LBB0_417:                              ;   Parent Loop BB0_39 Depth=1
                                        ;     Parent Loop BB0_366 Depth=2
                                        ; =>    This Inner Loop Header: Depth=3
	global_load_ubyte v10, v11, s[24:25]
	s_add_i32 s26, s26, -1
	s_waitcnt vmcnt(0)
	v_and_b32_e32 v10, 0xffff, v10
	v_lshlrev_b64 v[12:13], s2, v[10:11]
	s_add_u32 s2, s2, 8
	s_addc_u32 s3, s3, 0
	s_add_u32 s24, s24, 1
	s_addc_u32 s25, s25, 0
	v_or_b32_e32 v34, v12, v34
	s_cmp_lg_u32 s26, 0
	v_or_b32_e32 v35, v13, v35
	s_cbranch_scc1 .LBB0_417
	s_branch .LBB0_420
.LBB0_418:                              ;   in Loop: Header=BB0_366 Depth=2
	s_branch .LBB0_421
.LBB0_419:                              ;   in Loop: Header=BB0_366 Depth=2
	v_mov_b64_e32 v[34:35], 0
.LBB0_420:                              ;   in Loop: Header=BB0_366 Depth=2
	s_cbranch_execnz .LBB0_422
.LBB0_421:                              ;   in Loop: Header=BB0_366 Depth=2
	global_load_dwordx2 v[34:35], v11, s[22:23]
.LBB0_422:                              ;   in Loop: Header=BB0_366 Depth=2
	v_readfirstlane_b32 s2, v52
	v_mov_b64_e32 v[12:13], 0
	s_nop 0
	v_cmp_eq_u32_e64 s[2:3], s2, v52
	s_and_saveexec_b64 s[22:23], s[2:3]
	s_cbranch_execz .LBB0_428
; %bb.423:                              ;   in Loop: Header=BB0_366 Depth=2
	global_load_dwordx2 v[38:39], v11, s[16:17] offset:24 sc0 sc1
	s_waitcnt vmcnt(0)
	buffer_inv sc0 sc1
	global_load_dwordx2 v[12:13], v11, s[16:17] offset:40
	global_load_dwordx2 v[36:37], v11, s[16:17]
	s_waitcnt vmcnt(1)
	v_and_b32_e32 v10, v12, v38
	v_and_b32_e32 v12, v13, v39
	v_mul_lo_u32 v12, v12, 24
	v_mul_hi_u32 v13, v10, 24
	v_add_u32_e32 v13, v13, v12
	v_mul_lo_u32 v12, v10, 24
	s_waitcnt vmcnt(0)
	v_lshl_add_u64 v[12:13], v[36:37], 0, v[12:13]
	global_load_dwordx2 v[36:37], v[12:13], off sc0 sc1
	s_waitcnt vmcnt(0)
	global_atomic_cmpswap_x2 v[12:13], v11, v[36:39], s[16:17] offset:24 sc0 sc1
	s_waitcnt vmcnt(0)
	buffer_inv sc0 sc1
	v_cmp_ne_u64_e32 vcc, v[12:13], v[38:39]
	s_and_saveexec_b64 s[24:25], vcc
	s_cbranch_execz .LBB0_427
; %bb.424:                              ;   in Loop: Header=BB0_366 Depth=2
	s_mov_b64 s[26:27], 0
.LBB0_425:                              ;   Parent Loop BB0_39 Depth=1
                                        ;     Parent Loop BB0_366 Depth=2
                                        ; =>    This Inner Loop Header: Depth=3
	s_sleep 1
	global_load_dwordx2 v[36:37], v11, s[16:17] offset:40
	global_load_dwordx2 v[50:51], v11, s[16:17]
	v_mov_b64_e32 v[38:39], v[12:13]
	s_waitcnt vmcnt(1)
	v_and_b32_e32 v10, v36, v38
	s_waitcnt vmcnt(0)
	v_mad_u64_u32 v[12:13], s[28:29], v10, 24, v[50:51]
	v_and_b32_e32 v37, v37, v39
	v_mov_b32_e32 v10, v13
	v_mad_u64_u32 v[36:37], s[28:29], v37, 24, v[10:11]
	v_mov_b32_e32 v13, v36
	global_load_dwordx2 v[36:37], v[12:13], off sc0 sc1
	s_waitcnt vmcnt(0)
	global_atomic_cmpswap_x2 v[12:13], v11, v[36:39], s[16:17] offset:24 sc0 sc1
	s_waitcnt vmcnt(0)
	buffer_inv sc0 sc1
	v_cmp_eq_u64_e32 vcc, v[12:13], v[38:39]
	s_or_b64 s[26:27], vcc, s[26:27]
	s_andn2_b64 exec, exec, s[26:27]
	s_cbranch_execnz .LBB0_425
; %bb.426:                              ;   in Loop: Header=BB0_366 Depth=2
	s_or_b64 exec, exec, s[26:27]
.LBB0_427:                              ;   in Loop: Header=BB0_366 Depth=2
	s_or_b64 exec, exec, s[24:25]
.LBB0_428:                              ;   in Loop: Header=BB0_366 Depth=2
	s_or_b64 exec, exec, s[22:23]
	global_load_dwordx2 v[50:51], v11, s[16:17] offset:40
	global_load_dwordx4 v[36:39], v11, s[16:17]
	v_readfirstlane_b32 s23, v13
	v_readfirstlane_b32 s22, v12
	s_mov_b64 s[24:25], exec
	s_waitcnt vmcnt(1)
	v_readfirstlane_b32 s26, v50
	v_readfirstlane_b32 s27, v51
	s_and_b64 s[26:27], s[26:27], s[22:23]
	s_mul_i32 s5, s27, 24
	s_mul_hi_u32 s28, s26, 24
	s_add_i32 s29, s28, s5
	s_mul_i32 s28, s26, 24
	s_waitcnt vmcnt(0)
	v_lshl_add_u64 v[50:51], v[36:37], 0, s[28:29]
	s_and_saveexec_b64 s[28:29], s[2:3]
	s_cbranch_execz .LBB0_430
; %bb.429:                              ;   in Loop: Header=BB0_366 Depth=2
	v_mov_b64_e32 v[12:13], s[24:25]
	global_store_dwordx4 v[50:51], v[12:15], off offset:8
.LBB0_430:                              ;   in Loop: Header=BB0_366 Depth=2
	s_or_b64 exec, exec, s[28:29]
	s_lshl_b64 s[24:25], s[26:27], 12
	v_lshl_add_u64 v[12:13], v[38:39], 0, s[24:25]
	v_cmp_gt_u64_e64 s[24:25], s[18:19], 56
	s_and_b64 s[24:25], s[24:25], exec
	s_cselect_b32 s5, 0, 2
	s_lshl_b32 s24, s20, 2
	s_add_i32 s24, s24, 28
	v_and_b32_e32 v10, 0xffffff1f, v20
	s_and_b32 s24, s24, 0x1e0
	v_or_b32_e32 v10, s5, v10
	v_or_b32_e32 v20, s24, v10
	v_readfirstlane_b32 s24, v12
	v_readfirstlane_b32 s25, v13
	s_nop 4
	global_store_dwordx4 v48, v[20:23], s[24:25]
	global_store_dwordx4 v48, v[24:27], s[24:25] offset:16
	global_store_dwordx4 v48, v[28:31], s[24:25] offset:32
	;; [unrolled: 1-line block ×3, first 2 shown]
	s_and_saveexec_b64 s[24:25], s[2:3]
	s_cbranch_execz .LBB0_438
; %bb.431:                              ;   in Loop: Header=BB0_366 Depth=2
	global_load_dwordx2 v[28:29], v11, s[16:17] offset:32 sc0 sc1
	global_load_dwordx2 v[20:21], v11, s[16:17] offset:40
	v_mov_b32_e32 v26, s22
	v_mov_b32_e32 v27, s23
	s_waitcnt vmcnt(0)
	v_readfirstlane_b32 s26, v20
	v_readfirstlane_b32 s27, v21
	s_and_b64 s[26:27], s[26:27], s[22:23]
	s_mul_i32 s5, s27, 24
	s_mul_hi_u32 s27, s26, 24
	s_mul_i32 s26, s26, 24
	s_add_i32 s27, s27, s5
	v_lshl_add_u64 v[24:25], v[36:37], 0, s[26:27]
	global_store_dwordx2 v[24:25], v[28:29], off
	buffer_wbl2 sc0 sc1
	s_waitcnt vmcnt(0)
	global_atomic_cmpswap_x2 v[22:23], v11, v[26:29], s[16:17] offset:32 sc0 sc1
	s_waitcnt vmcnt(0)
	v_cmp_ne_u64_e32 vcc, v[22:23], v[28:29]
	s_and_saveexec_b64 s[26:27], vcc
	s_cbranch_execz .LBB0_434
; %bb.432:                              ;   in Loop: Header=BB0_366 Depth=2
	s_mov_b64 s[28:29], 0
.LBB0_433:                              ;   Parent Loop BB0_39 Depth=1
                                        ;     Parent Loop BB0_366 Depth=2
                                        ; =>    This Inner Loop Header: Depth=3
	s_sleep 1
	global_store_dwordx2 v[24:25], v[22:23], off
	v_mov_b32_e32 v20, s22
	v_mov_b32_e32 v21, s23
	buffer_wbl2 sc0 sc1
	s_waitcnt vmcnt(0)
	global_atomic_cmpswap_x2 v[20:21], v11, v[20:23], s[16:17] offset:32 sc0 sc1
	s_waitcnt vmcnt(0)
	v_cmp_eq_u64_e32 vcc, v[20:21], v[22:23]
	s_or_b64 s[28:29], vcc, s[28:29]
	v_mov_b64_e32 v[22:23], v[20:21]
	s_andn2_b64 exec, exec, s[28:29]
	s_cbranch_execnz .LBB0_433
.LBB0_434:                              ;   in Loop: Header=BB0_366 Depth=2
	s_or_b64 exec, exec, s[26:27]
	global_load_dwordx2 v[20:21], v11, s[16:17] offset:16
	s_mov_b64 s[28:29], exec
	v_mbcnt_lo_u32_b32 v10, s28, 0
	v_mbcnt_hi_u32_b32 v10, s29, v10
	v_cmp_eq_u32_e32 vcc, 0, v10
	s_and_saveexec_b64 s[26:27], vcc
	s_cbranch_execz .LBB0_436
; %bb.435:                              ;   in Loop: Header=BB0_366 Depth=2
	s_bcnt1_i32_b64 s5, s[28:29]
	v_mov_b32_e32 v10, s5
	buffer_wbl2 sc0 sc1
	s_waitcnt vmcnt(0)
	global_atomic_add_x2 v[20:21], v[10:11], off offset:8 sc1
.LBB0_436:                              ;   in Loop: Header=BB0_366 Depth=2
	s_or_b64 exec, exec, s[26:27]
	s_waitcnt vmcnt(0)
	global_load_dwordx2 v[22:23], v[20:21], off offset:16
	s_waitcnt vmcnt(0)
	v_cmp_eq_u64_e32 vcc, 0, v[22:23]
	s_cbranch_vccnz .LBB0_438
; %bb.437:                              ;   in Loop: Header=BB0_366 Depth=2
	global_load_dword v10, v[20:21], off offset:24
	s_waitcnt vmcnt(0)
	v_readfirstlane_b32 s5, v10
	s_and_b32 m0, s5, 0xffffff
	buffer_wbl2 sc0 sc1
	global_store_dwordx2 v[22:23], v[10:11], off sc0 sc1
	s_sendmsg sendmsg(MSG_INTERRUPT)
.LBB0_438:                              ;   in Loop: Header=BB0_366 Depth=2
	s_or_b64 exec, exec, s[24:25]
	v_mov_b32_e32 v49, v11
	v_lshl_add_u64 v[12:13], v[12:13], 0, v[48:49]
	s_branch .LBB0_442
.LBB0_439:                              ;   in Loop: Header=BB0_442 Depth=3
	s_or_b64 exec, exec, s[24:25]
	v_readfirstlane_b32 s5, v10
	s_cmp_eq_u32 s5, 0
	s_cbranch_scc1 .LBB0_441
; %bb.440:                              ;   in Loop: Header=BB0_442 Depth=3
	s_sleep 1
	s_cbranch_execnz .LBB0_442
	s_branch .LBB0_444
.LBB0_441:                              ;   in Loop: Header=BB0_366 Depth=2
	s_branch .LBB0_444
.LBB0_442:                              ;   Parent Loop BB0_39 Depth=1
                                        ;     Parent Loop BB0_366 Depth=2
                                        ; =>    This Inner Loop Header: Depth=3
	v_mov_b32_e32 v10, 1
	s_and_saveexec_b64 s[24:25], s[2:3]
	s_cbranch_execz .LBB0_439
; %bb.443:                              ;   in Loop: Header=BB0_442 Depth=3
	global_load_dword v10, v[50:51], off offset:20 sc0 sc1
	s_waitcnt vmcnt(0)
	buffer_inv sc0 sc1
	v_and_b32_e32 v10, 1, v10
	s_branch .LBB0_439
.LBB0_444:                              ;   in Loop: Header=BB0_366 Depth=2
	global_load_dwordx4 v[20:23], v[12:13], off
	s_and_saveexec_b64 s[24:25], s[2:3]
	s_cbranch_execz .LBB0_365
; %bb.445:                              ;   in Loop: Header=BB0_366 Depth=2
	global_load_dwordx2 v[12:13], v11, s[16:17] offset:40
	global_load_dwordx2 v[26:27], v11, s[16:17] offset:24 sc0 sc1
	global_load_dwordx2 v[22:23], v11, s[16:17]
	s_waitcnt vmcnt(2)
	v_readfirstlane_b32 s26, v12
	v_readfirstlane_b32 s27, v13
	s_add_u32 s5, s26, 1
	s_addc_u32 s28, s27, 0
	s_add_u32 s2, s5, s22
	s_addc_u32 s3, s28, s23
	s_cmp_eq_u64 s[2:3], 0
	s_cselect_b32 s3, s28, s3
	s_cselect_b32 s2, s5, s2
	s_and_b64 s[22:23], s[2:3], s[26:27]
	s_mul_i32 s5, s23, 24
	s_mul_hi_u32 s23, s22, 24
	s_mul_i32 s22, s22, 24
	s_add_i32 s23, s23, s5
	s_waitcnt vmcnt(0)
	v_lshl_add_u64 v[12:13], v[22:23], 0, s[22:23]
	v_mov_b32_e32 v24, s2
	global_store_dwordx2 v[12:13], v[26:27], off
	v_mov_b32_e32 v25, s3
	buffer_wbl2 sc0 sc1
	s_waitcnt vmcnt(0)
	global_atomic_cmpswap_x2 v[24:25], v11, v[24:27], s[16:17] offset:24 sc0 sc1
	s_waitcnt vmcnt(0)
	v_cmp_ne_u64_e32 vcc, v[24:25], v[26:27]
	s_and_b64 exec, exec, vcc
	s_cbranch_execz .LBB0_365
; %bb.446:                              ;   in Loop: Header=BB0_366 Depth=2
	s_mov_b64 s[22:23], 0
.LBB0_447:                              ;   Parent Loop BB0_39 Depth=1
                                        ;     Parent Loop BB0_366 Depth=2
                                        ; =>    This Inner Loop Header: Depth=3
	s_sleep 1
	global_store_dwordx2 v[12:13], v[24:25], off
	v_mov_b32_e32 v22, s2
	v_mov_b32_e32 v23, s3
	buffer_wbl2 sc0 sc1
	s_waitcnt vmcnt(0)
	global_atomic_cmpswap_x2 v[22:23], v11, v[22:25], s[16:17] offset:24 sc0 sc1
	s_waitcnt vmcnt(0)
	v_cmp_eq_u64_e32 vcc, v[22:23], v[24:25]
	s_or_b64 s[22:23], vcc, s[22:23]
	v_mov_b64_e32 v[24:25], v[22:23]
	s_andn2_b64 exec, exec, s[22:23]
	s_cbranch_execnz .LBB0_447
	s_branch .LBB0_365
.LBB0_448:                              ;   in Loop: Header=BB0_39 Depth=1
	s_branch .LBB0_478
.LBB0_449:                              ;   in Loop: Header=BB0_39 Depth=1
	s_cbranch_execz .LBB0_478
; %bb.450:                              ;   in Loop: Header=BB0_39 Depth=1
	v_readfirstlane_b32 s2, v52
	v_mov_b64_e32 v[12:13], 0
	s_nop 0
	v_cmp_eq_u32_e64 s[2:3], s2, v52
	s_and_saveexec_b64 s[6:7], s[2:3]
	s_cbranch_execz .LBB0_456
; %bb.451:                              ;   in Loop: Header=BB0_39 Depth=1
	global_load_dwordx2 v[22:23], v11, s[16:17] offset:24 sc0 sc1
	s_waitcnt vmcnt(0)
	buffer_inv sc0 sc1
	global_load_dwordx2 v[12:13], v11, s[16:17] offset:40
	global_load_dwordx2 v[20:21], v11, s[16:17]
	s_waitcnt vmcnt(1)
	v_and_b32_e32 v10, v12, v22
	v_and_b32_e32 v12, v13, v23
	v_mul_lo_u32 v12, v12, 24
	v_mul_hi_u32 v13, v10, 24
	v_add_u32_e32 v13, v13, v12
	v_mul_lo_u32 v12, v10, 24
	s_waitcnt vmcnt(0)
	v_lshl_add_u64 v[12:13], v[20:21], 0, v[12:13]
	global_load_dwordx2 v[20:21], v[12:13], off sc0 sc1
	s_waitcnt vmcnt(0)
	global_atomic_cmpswap_x2 v[12:13], v11, v[20:23], s[16:17] offset:24 sc0 sc1
	s_waitcnt vmcnt(0)
	buffer_inv sc0 sc1
	v_cmp_ne_u64_e32 vcc, v[12:13], v[22:23]
	s_and_saveexec_b64 s[18:19], vcc
	s_cbranch_execz .LBB0_455
; %bb.452:                              ;   in Loop: Header=BB0_39 Depth=1
	s_mov_b64 s[20:21], 0
.LBB0_453:                              ;   Parent Loop BB0_39 Depth=1
                                        ; =>  This Inner Loop Header: Depth=2
	s_sleep 1
	global_load_dwordx2 v[20:21], v11, s[16:17] offset:40
	global_load_dwordx2 v[24:25], v11, s[16:17]
	v_mov_b64_e32 v[22:23], v[12:13]
	s_waitcnt vmcnt(1)
	v_and_b32_e32 v10, v20, v22
	s_waitcnt vmcnt(0)
	v_mad_u64_u32 v[12:13], s[22:23], v10, 24, v[24:25]
	v_and_b32_e32 v21, v21, v23
	v_mov_b32_e32 v10, v13
	v_mad_u64_u32 v[20:21], s[22:23], v21, 24, v[10:11]
	v_mov_b32_e32 v13, v20
	global_load_dwordx2 v[20:21], v[12:13], off sc0 sc1
	s_waitcnt vmcnt(0)
	global_atomic_cmpswap_x2 v[12:13], v11, v[20:23], s[16:17] offset:24 sc0 sc1
	s_waitcnt vmcnt(0)
	buffer_inv sc0 sc1
	v_cmp_eq_u64_e32 vcc, v[12:13], v[22:23]
	s_or_b64 s[20:21], vcc, s[20:21]
	s_andn2_b64 exec, exec, s[20:21]
	s_cbranch_execnz .LBB0_453
; %bb.454:                              ;   in Loop: Header=BB0_39 Depth=1
	s_or_b64 exec, exec, s[20:21]
.LBB0_455:                              ;   in Loop: Header=BB0_39 Depth=1
	s_or_b64 exec, exec, s[18:19]
.LBB0_456:                              ;   in Loop: Header=BB0_39 Depth=1
	s_or_b64 exec, exec, s[6:7]
	global_load_dwordx2 v[24:25], v11, s[16:17] offset:40
	global_load_dwordx4 v[20:23], v11, s[16:17]
	v_readfirstlane_b32 s19, v13
	v_readfirstlane_b32 s18, v12
	s_mov_b64 s[6:7], exec
	s_waitcnt vmcnt(1)
	v_readfirstlane_b32 s20, v24
	v_readfirstlane_b32 s21, v25
	s_and_b64 s[20:21], s[20:21], s[18:19]
	s_mul_i32 s5, s21, 24
	s_mul_hi_u32 s22, s20, 24
	s_add_i32 s23, s22, s5
	s_mul_i32 s22, s20, 24
	s_waitcnt vmcnt(0)
	v_lshl_add_u64 v[24:25], v[20:21], 0, s[22:23]
	s_and_saveexec_b64 s[22:23], s[2:3]
	s_cbranch_execz .LBB0_458
; %bb.457:                              ;   in Loop: Header=BB0_39 Depth=1
	v_mov_b64_e32 v[12:13], s[6:7]
	global_store_dwordx4 v[24:25], v[12:15], off offset:8
.LBB0_458:                              ;   in Loop: Header=BB0_39 Depth=1
	s_or_b64 exec, exec, s[22:23]
	s_lshl_b64 s[6:7], s[20:21], 12
	v_lshl_add_u64 v[12:13], v[22:23], 0, s[6:7]
	s_mov_b32 s6, s4
	s_mov_b32 s7, s4
	;; [unrolled: 1-line block ×3, first 2 shown]
	v_mov_b64_e32 v[28:29], s[6:7]
	v_and_or_b32 v8, v8, s40, 34
	v_mov_b32_e32 v10, v11
	v_readfirstlane_b32 s20, v12
	v_readfirstlane_b32 s21, v13
	v_mov_b64_e32 v[26:27], s[4:5]
	s_nop 3
	global_store_dwordx4 v48, v[8:11], s[20:21]
	global_store_dwordx4 v48, v[26:29], s[20:21] offset:16
	global_store_dwordx4 v48, v[26:29], s[20:21] offset:32
	;; [unrolled: 1-line block ×3, first 2 shown]
	s_and_saveexec_b64 s[6:7], s[2:3]
	s_cbranch_execz .LBB0_466
; %bb.459:                              ;   in Loop: Header=BB0_39 Depth=1
	global_load_dwordx2 v[28:29], v11, s[16:17] offset:32 sc0 sc1
	global_load_dwordx2 v[8:9], v11, s[16:17] offset:40
	v_mov_b32_e32 v26, s18
	v_mov_b32_e32 v27, s19
	s_waitcnt vmcnt(0)
	v_readfirstlane_b32 s20, v8
	v_readfirstlane_b32 s21, v9
	s_and_b64 s[20:21], s[20:21], s[18:19]
	s_mul_i32 s5, s21, 24
	s_mul_hi_u32 s21, s20, 24
	s_mul_i32 s20, s20, 24
	s_add_i32 s21, s21, s5
	v_lshl_add_u64 v[8:9], v[20:21], 0, s[20:21]
	global_store_dwordx2 v[8:9], v[28:29], off
	buffer_wbl2 sc0 sc1
	s_waitcnt vmcnt(0)
	global_atomic_cmpswap_x2 v[22:23], v11, v[26:29], s[16:17] offset:32 sc0 sc1
	s_waitcnt vmcnt(0)
	v_cmp_ne_u64_e32 vcc, v[22:23], v[28:29]
	s_and_saveexec_b64 s[20:21], vcc
	s_cbranch_execz .LBB0_462
; %bb.460:                              ;   in Loop: Header=BB0_39 Depth=1
	s_mov_b64 s[22:23], 0
.LBB0_461:                              ;   Parent Loop BB0_39 Depth=1
                                        ; =>  This Inner Loop Header: Depth=2
	s_sleep 1
	global_store_dwordx2 v[8:9], v[22:23], off
	v_mov_b32_e32 v20, s18
	v_mov_b32_e32 v21, s19
	buffer_wbl2 sc0 sc1
	s_waitcnt vmcnt(0)
	global_atomic_cmpswap_x2 v[12:13], v11, v[20:23], s[16:17] offset:32 sc0 sc1
	s_waitcnt vmcnt(0)
	v_cmp_eq_u64_e32 vcc, v[12:13], v[22:23]
	s_or_b64 s[22:23], vcc, s[22:23]
	v_mov_b64_e32 v[22:23], v[12:13]
	s_andn2_b64 exec, exec, s[22:23]
	s_cbranch_execnz .LBB0_461
.LBB0_462:                              ;   in Loop: Header=BB0_39 Depth=1
	s_or_b64 exec, exec, s[20:21]
	global_load_dwordx2 v[8:9], v11, s[16:17] offset:16
	s_mov_b64 s[22:23], exec
	v_mbcnt_lo_u32_b32 v10, s22, 0
	v_mbcnt_hi_u32_b32 v10, s23, v10
	v_cmp_eq_u32_e32 vcc, 0, v10
	s_and_saveexec_b64 s[20:21], vcc
	s_cbranch_execz .LBB0_464
; %bb.463:                              ;   in Loop: Header=BB0_39 Depth=1
	s_bcnt1_i32_b64 s5, s[22:23]
	v_mov_b32_e32 v10, s5
	buffer_wbl2 sc0 sc1
	s_waitcnt vmcnt(0)
	global_atomic_add_x2 v[8:9], v[10:11], off offset:8 sc1
.LBB0_464:                              ;   in Loop: Header=BB0_39 Depth=1
	s_or_b64 exec, exec, s[20:21]
	s_waitcnt vmcnt(0)
	global_load_dwordx2 v[12:13], v[8:9], off offset:16
	s_waitcnt vmcnt(0)
	v_cmp_eq_u64_e32 vcc, 0, v[12:13]
	s_cbranch_vccnz .LBB0_466
; %bb.465:                              ;   in Loop: Header=BB0_39 Depth=1
	global_load_dword v10, v[8:9], off offset:24
	s_waitcnt vmcnt(0)
	v_readfirstlane_b32 s5, v10
	s_and_b32 m0, s5, 0xffffff
	buffer_wbl2 sc0 sc1
	global_store_dwordx2 v[12:13], v[10:11], off sc0 sc1
	s_sendmsg sendmsg(MSG_INTERRUPT)
.LBB0_466:                              ;   in Loop: Header=BB0_39 Depth=1
	s_or_b64 exec, exec, s[6:7]
	s_branch .LBB0_470
.LBB0_467:                              ;   in Loop: Header=BB0_470 Depth=2
	s_or_b64 exec, exec, s[6:7]
	v_readfirstlane_b32 s5, v8
	s_cmp_eq_u32 s5, 0
	s_cbranch_scc1 .LBB0_469
; %bb.468:                              ;   in Loop: Header=BB0_470 Depth=2
	s_sleep 1
	s_cbranch_execnz .LBB0_470
	s_branch .LBB0_472
.LBB0_469:                              ;   in Loop: Header=BB0_39 Depth=1
	s_branch .LBB0_472
.LBB0_470:                              ;   Parent Loop BB0_39 Depth=1
                                        ; =>  This Inner Loop Header: Depth=2
	v_mov_b32_e32 v8, 1
	s_and_saveexec_b64 s[6:7], s[2:3]
	s_cbranch_execz .LBB0_467
; %bb.471:                              ;   in Loop: Header=BB0_470 Depth=2
	global_load_dword v8, v[24:25], off offset:20 sc0 sc1
	s_waitcnt vmcnt(0)
	buffer_inv sc0 sc1
	v_and_b32_e32 v8, 1, v8
	s_branch .LBB0_467
.LBB0_472:                              ;   in Loop: Header=BB0_39 Depth=1
	s_and_saveexec_b64 s[6:7], s[2:3]
	s_xor_b64 s[2:3], exec, s[6:7]
	s_cbranch_execz .LBB0_477
; %bb.473:                              ;   in Loop: Header=BB0_39 Depth=1
	global_load_dwordx2 v[8:9], v11, s[16:17] offset:40
	global_load_dwordx2 v[24:25], v11, s[16:17] offset:24 sc0 sc1
	global_load_dwordx2 v[12:13], v11, s[16:17]
	s_waitcnt vmcnt(2)
	v_readfirstlane_b32 s20, v8
	v_readfirstlane_b32 s21, v9
	s_add_u32 s5, s20, 1
	s_addc_u32 s22, s21, 0
	s_add_u32 s6, s5, s18
	s_addc_u32 s7, s22, s19
	s_cmp_eq_u64 s[6:7], 0
	s_cselect_b32 s7, s22, s7
	s_cselect_b32 s6, s5, s6
	s_and_b64 s[18:19], s[6:7], s[20:21]
	s_mul_i32 s5, s19, 24
	s_mul_hi_u32 s19, s18, 24
	s_mul_i32 s18, s18, 24
	s_add_i32 s19, s19, s5
	s_waitcnt vmcnt(0)
	v_lshl_add_u64 v[8:9], v[12:13], 0, s[18:19]
	v_mov_b32_e32 v22, s6
	global_store_dwordx2 v[8:9], v[24:25], off
	v_mov_b32_e32 v23, s7
	buffer_wbl2 sc0 sc1
	s_waitcnt vmcnt(0)
	global_atomic_cmpswap_x2 v[22:23], v11, v[22:25], s[16:17] offset:24 sc0 sc1
	s_waitcnt vmcnt(0)
	v_cmp_ne_u64_e32 vcc, v[22:23], v[24:25]
	s_and_saveexec_b64 s[18:19], vcc
	s_cbranch_execz .LBB0_476
; %bb.474:                              ;   in Loop: Header=BB0_39 Depth=1
	s_mov_b64 s[20:21], 0
.LBB0_475:                              ;   Parent Loop BB0_39 Depth=1
                                        ; =>  This Inner Loop Header: Depth=2
	s_sleep 1
	global_store_dwordx2 v[8:9], v[22:23], off
	v_mov_b32_e32 v20, s6
	v_mov_b32_e32 v21, s7
	buffer_wbl2 sc0 sc1
	s_waitcnt vmcnt(0)
	global_atomic_cmpswap_x2 v[12:13], v11, v[20:23], s[16:17] offset:24 sc0 sc1
	s_waitcnt vmcnt(0)
	v_cmp_eq_u64_e32 vcc, v[12:13], v[22:23]
	s_or_b64 s[20:21], vcc, s[20:21]
	v_mov_b64_e32 v[22:23], v[12:13]
	s_andn2_b64 exec, exec, s[20:21]
	s_cbranch_execnz .LBB0_475
.LBB0_476:                              ;   in Loop: Header=BB0_39 Depth=1
	s_or_b64 exec, exec, s[18:19]
.LBB0_477:                              ;   in Loop: Header=BB0_39 Depth=1
	s_or_b64 exec, exec, s[2:3]
.LBB0_478:                              ;   in Loop: Header=BB0_39 Depth=1
	s_mov_b64 s[2:3], exec
	v_mov_b32_e32 v10, v7
.LBB0_479:                              ;   in Loop: Header=BB0_39 Depth=1
	s_or_b64 exec, exec, s[14:15]
	s_orn2_b64 s[6:7], s[2:3], exec
.LBB0_480:                              ;   in Loop: Header=BB0_39 Depth=1
	s_or_b64 exec, exec, s[12:13]
	s_mov_b64 s[14:15], 0
.LBB0_481:                              ;   in Loop: Header=BB0_39 Depth=1
                                        ; implicit-def: $sgpr2_sgpr3
	s_branch .LBB0_38
.LBB0_482:
	v_mad_u64_u32 v[0:1], s[0:1], v53, 56, v[0:1]
	s_waitcnt vmcnt(0) lgkmcnt(0)
	s_setpc_b64 s[30:31]
.LBB0_483:
	v_cmp_lt_i32_e32 vcc, 2, v7
	v_mov_b32_e32 v7, v5
	s_and_saveexec_b64 s[2:3], vcc
	s_cbranch_execz .LBB0_485
; %bb.484:
	flat_load_ubyte v7, v[8:9] offset:2
	s_waitcnt vmcnt(0) lgkmcnt(0)
	v_lshlrev_b32_e32 v7, 16, v7
	v_xor_b32_e32 v7, v7, v5
.LBB0_485:
	s_or_b64 exec, exec, s[2:3]
	flat_load_ubyte v10, v[8:9] offset:1
	s_mov_b64 s[2:3], exec
	s_waitcnt vmcnt(0) lgkmcnt(0)
	v_lshlrev_b32_e32 v10, 8, v10
	v_xor_b32_e32 v10, v10, v7
                                        ; implicit-def: $vgpr7
	s_andn2_saveexec_b64 s[4:5], s[4:5]
	s_cbranch_execz .LBB0_7
.LBB0_486:
	v_cmp_eq_u32_e32 vcc, 1, v7
	s_andn2_b64 s[2:3], s[2:3], exec
	s_and_b64 s[6:7], vcc, exec
	s_or_b64 s[2:3], s[2:3], s[6:7]
	v_mov_b32_e32 v10, v5
	s_or_b64 exec, exec, s[4:5]
	s_and_saveexec_b64 s[4:5], s[2:3]
	s_cbranch_execnz .LBB0_8
	s_branch .LBB0_9
.LBB0_487:
	flat_load_ubyte v14, v[8:9] offset:2
	s_mov_b64 s[4:5], exec
	s_waitcnt vmcnt(0) lgkmcnt(0)
	v_lshlrev_b32_e32 v14, 16, v14
	s_andn2_saveexec_b64 s[6:7], s[6:7]
	s_cbranch_execz .LBB0_22
.LBB0_488:
	v_cmp_eq_u32_e32 vcc, 2, v10
	s_andn2_b64 s[4:5], s[4:5], exec
	s_and_b64 s[10:11], vcc, exec
	v_mov_b32_e32 v14, 0
	s_or_b64 s[4:5], s[4:5], s[10:11]
	s_or_b64 exec, exec, s[6:7]
	v_mov_b32_e32 v15, 0
	s_and_saveexec_b64 s[6:7], s[4:5]
	s_cbranch_execnz .LBB0_23
	s_branch .LBB0_24
.LBB0_489:
	flat_load_ubyte v7, v[8:9] offset:1
	s_mov_b64 s[4:5], exec
                                        ; implicit-def: $vgpr10
	s_waitcnt vmcnt(0) lgkmcnt(0)
	v_lshlrev_b32_e32 v7, 8, v7
	v_xor_b32_e32 v7, v7, v5
	s_andn2_saveexec_b64 s[6:7], s[6:7]
	s_cbranch_execz .LBB0_26
.LBB0_490:
	v_cmp_eq_u32_e32 vcc, 1, v10
	s_andn2_b64 s[4:5], s[4:5], exec
	s_and_b64 s[10:11], vcc, exec
	s_or_b64 s[4:5], s[4:5], s[10:11]
	v_mov_b32_e32 v7, v5
	s_or_b64 exec, exec, s[6:7]
	s_and_saveexec_b64 s[6:7], s[4:5]
	s_cbranch_execnz .LBB0_27
	s_branch .LBB0_28
.LBB0_491:
	flat_load_ubyte v10, v[8:9] offset:1
	s_mov_b64 s[4:5], exec
	s_waitcnt vmcnt(0) lgkmcnt(0)
	v_lshlrev_b32_e32 v10, 8, v10
	s_andn2_saveexec_b64 s[6:7], s[6:7]
	s_cbranch_execz .LBB0_32
.LBB0_492:
	v_cmp_eq_u32_e32 vcc, 1, v13
	s_andn2_b64 s[4:5], s[4:5], exec
	s_and_b64 s[10:11], vcc, exec
	v_mov_b32_e32 v10, 0
	s_or_b64 s[4:5], s[4:5], s[10:11]
	s_or_b64 exec, exec, s[6:7]
	s_and_saveexec_b64 s[6:7], s[4:5]
	s_cbranch_execnz .LBB0_33
	s_branch .LBB0_34
.Lfunc_end0:
	.size	_Z13ht_get_atomicP6loc_ht9cstr_typej, .Lfunc_end0-_Z13ht_get_atomicP6loc_ht9cstr_typej
                                        ; -- End function
	.set .L_Z13ht_get_atomicP6loc_ht9cstr_typej.num_vgpr, 55
	.set .L_Z13ht_get_atomicP6loc_ht9cstr_typej.num_agpr, 0
	.set .L_Z13ht_get_atomicP6loc_ht9cstr_typej.numbered_sgpr, 41
	.set .L_Z13ht_get_atomicP6loc_ht9cstr_typej.num_named_barrier, 0
	.set .L_Z13ht_get_atomicP6loc_ht9cstr_typej.private_seg_size, 0
	.set .L_Z13ht_get_atomicP6loc_ht9cstr_typej.uses_vcc, 1
	.set .L_Z13ht_get_atomicP6loc_ht9cstr_typej.uses_flat_scratch, 0
	.set .L_Z13ht_get_atomicP6loc_ht9cstr_typej.has_dyn_sized_stack, 0
	.set .L_Z13ht_get_atomicP6loc_ht9cstr_typej.has_recursion, 0
	.set .L_Z13ht_get_atomicP6loc_ht9cstr_typej.has_indirect_call, 0
	.section	.AMDGPU.csdata,"",@progbits
; Function info:
; codeLenInByte = 15380
; TotalNumSgprs: 47
; NumVgprs: 55
; NumAgprs: 0
; TotalNumVgprs: 55
; ScratchSize: 0
; MemoryBound: 0
	.section	.text._Z22iterative_walks_kernelILi32EEvPjS0_PcS1_S1_S0_S0_PdP6loc_htS0_P11loc_ht_boolijS0_llliijS1_S1_S0_i,"axG",@progbits,_Z22iterative_walks_kernelILi32EEvPjS0_PcS1_S1_S0_S0_PdP6loc_htS0_P11loc_ht_boolijS0_llliijS1_S1_S0_i,comdat
	.protected	_Z22iterative_walks_kernelILi32EEvPjS0_PcS1_S1_S0_S0_PdP6loc_htS0_P11loc_ht_boolijS0_llliijS1_S1_S0_i ; -- Begin function _Z22iterative_walks_kernelILi32EEvPjS0_PcS1_S1_S0_S0_PdP6loc_htS0_P11loc_ht_boolijS0_llliijS1_S1_S0_i
	.globl	_Z22iterative_walks_kernelILi32EEvPjS0_PcS1_S1_S0_S0_PdP6loc_htS0_P11loc_ht_boolijS0_llliijS1_S1_S0_i
	.p2align	8
	.type	_Z22iterative_walks_kernelILi32EEvPjS0_PcS1_S1_S0_S0_PdP6loc_htS0_P11loc_ht_boolijS0_llliijS1_S1_S0_i,@function
_Z22iterative_walks_kernelILi32EEvPjS0_PcS1_S1_S0_S0_PdP6loc_htS0_P11loc_ht_boolijS0_llliijS1_S1_S0_i: ; @_Z22iterative_walks_kernelILi32EEvPjS0_PcS1_S1_S0_S0_PdP6loc_htS0_P11loc_ht_boolijS0_llliijS1_S1_S0_i
; %bb.0:
	s_mov_b64 s[34:35], s[2:3]
	s_load_dword s2, s[2:3], 0xbc
	s_nop 0
	s_load_dword s3, s[34:35], 0xa8
	s_add_u32 s60, s34, 0xb0
	s_addc_u32 s61, s35, 0
	v_and_b32_e32 v1, 0x3ff, v0
	s_waitcnt lgkmcnt(0)
	s_and_b32 s2, s2, 0xffff
	s_mul_i32 s4, s4, s2
	v_add_u32_e32 v2, s4, v1
	v_lshrrev_b32_e32 v8, 5, v2
	v_cmp_gt_i32_e32 vcc, s3, v8
	s_movk_i32 s32, 0x50
	s_and_saveexec_b64 s[2:3], vcc
	s_cbranch_execz .LBB1_729
; %bb.1:
	s_load_dwordx16 s[44:59], s[34:35], 0x8
	s_load_dwordx4 s[4:7], s[34:35], 0x48
	s_load_dwordx2 s[2:3], s[34:35], 0x58
	s_load_dwordx2 s[62:63], s[34:35], 0x70
	s_load_dwordx4 s[8:11], s[34:35], 0x90
	v_cmp_lt_u32_e64 s[36:37], 31, v2
	v_lshlrev_b32_e32 v64, 2, v8
                                        ; implicit-def: $vgpr55
                                        ; implicit-def: $vgpr43
                                        ; implicit-def: $vgpr66_vgpr67
                                        ; implicit-def: $vgpr68_vgpr69
                                        ; implicit-def: $vgpr76_vgpr77
                                        ; implicit-def: $vgpr72_vgpr73
                                        ; implicit-def: $vgpr70_vgpr71
                                        ; implicit-def: $vgpr42
                                        ; implicit-def: $vgpr40_vgpr41
                                        ; implicit-def: $vgpr74_vgpr75
                                        ; implicit-def: $vgpr2_vgpr3
	s_and_saveexec_b64 s[12:13], s[36:37]
	s_xor_b64 s[12:13], exec, s[12:13]
	s_cbranch_execz .LBB1_7
; %bb.2:
	s_waitcnt lgkmcnt(0)
	global_load_dwordx2 v[4:5], v64, s[44:45] offset:-4
	global_load_dwordx2 v[6:7], v64, s[54:55] offset:-4
	v_lshlrev_b32_e32 v2, 3, v8
	global_load_dwordx2 v[2:3], v2, s[56:57]
	v_mov_b64_e32 v[66:67], s[48:49]
	s_waitcnt vmcnt(1)
	v_cmp_ne_u32_e32 vcc, 0, v6
	s_and_saveexec_b64 s[14:15], vcc
	s_cbranch_execz .LBB1_4
; %bb.3:
	v_add_u32_e32 v10, -1, v6
	v_mov_b32_e32 v11, 0
	v_lshl_add_u64 v[12:13], v[10:11], 2, s[52:53]
	global_load_dword v10, v[12:13], off
	s_waitcnt vmcnt(0)
	v_lshl_add_u64 v[66:67], s[48:49], 0, v[10:11]
.LBB1_4:
	s_or_b64 exec, exec, s[14:15]
	v_mov_b64_e32 v[68:69], s[50:51]
	s_and_saveexec_b64 s[14:15], vcc
	s_cbranch_execz .LBB1_6
; %bb.5:
	v_add_u32_e32 v10, -1, v6
	v_mov_b32_e32 v11, 0
	v_lshl_add_u64 v[12:13], v[10:11], 2, s[52:53]
	global_load_dword v10, v[12:13], off
	s_waitcnt vmcnt(0)
	v_lshl_add_u64 v[68:69], s[50:51], 0, v[10:11]
.LBB1_6:
	s_or_b64 exec, exec, s[14:15]
	global_load_dwordx2 v[10:11], v64, s[4:5] offset:-4
	v_mad_u64_u32 v[12:13], s[14:15], s62, v8, 0
	s_add_u32 s3, s62, s3
	v_mov_b64_e32 v[16:17], s[10:11]
	v_mul_lo_u32 v9, s63, v8
	v_mad_u64_u32 v[70:71], s[14:15], v12, 24, s[6:7]
	v_mad_u64_u32 v[76:77], s[14:15], s3, v8, v[16:17]
	v_mov_b64_e32 v[14:15], s[8:9]
	v_mov_b32_e32 v18, v4
	v_sub_u32_e32 v43, v5, v4
	v_sub_u32_e32 v55, v7, v6
	v_add_u32_e32 v5, v13, v9
	s_addc_u32 s16, s63, 0
	v_mov_b32_e32 v4, v71
	v_mov_b32_e32 v6, v77
	;; [unrolled: 1-line block ×3, first 2 shown]
	v_mad_u64_u32 v[72:73], s[14:15], s62, v8, v[14:15]
	v_mad_u64_u32 v[4:5], s[14:15], v5, 24, v[4:5]
	;; [unrolled: 1-line block ×3, first 2 shown]
	v_lshl_add_u64 v[74:75], s[46:47], 0, v[18:19]
	v_add_u32_e32 v73, v9, v73
	v_mov_b32_e32 v71, v4
	v_mov_b32_e32 v77, v6
	s_waitcnt vmcnt(0)
	v_mad_u64_u32 v[40:41], s[14:15], v10, 56, s[58:59]
	v_sub_u32_e32 v42, v11, v10
.LBB1_7:
	s_or_saveexec_b64 s[12:13], s[12:13]
	s_load_dwordx2 s[18:19], s[34:35], 0xa0
	s_xor_b64 exec, exec, s[12:13]
	s_cbranch_execz .LBB1_9
; %bb.8:
	s_waitcnt lgkmcnt(0)
	s_load_dwordx2 s[14:15], s[56:57], 0x0
	s_load_dword s3, s[44:45], 0x0
	s_load_dword s16, s[4:5], 0x0
	;; [unrolled: 1-line block ×3, first 2 shown]
	v_mov_b64_e32 v[74:75], s[46:47]
	s_waitcnt lgkmcnt(0)
	v_mov_b64_e32 v[2:3], s[14:15]
	v_mov_b64_e32 v[40:41], s[58:59]
	v_mov_b32_e32 v42, s16
	v_mov_b64_e32 v[70:71], s[6:7]
	v_mov_b64_e32 v[72:73], s[8:9]
	;; [unrolled: 1-line block ×5, first 2 shown]
	v_mov_b32_e32 v43, s3
	v_mov_b32_e32 v55, s17
.LBB1_9:
	s_or_b64 exec, exec, s[12:13]
	v_min_i32_e32 v91, 0x79, v43
	s_waitcnt lgkmcnt(0)
	s_cmp_gt_i32 s2, 20
	v_and_b32_e32 v78, 31, v1
	s_cselect_b64 s[4:5], -1, 0
	v_cmp_le_i32_e32 vcc, s2, v91
	v_mov_b32_e32 v4, 0
	s_and_b64 s[4:5], s[4:5], vcc
	s_mov_b64 s[6:7], exec
                                        ; implicit-def: $vgpr114 : SGPR spill to VGPR lane
	v_writelane_b32 v114, s6, 0
	s_and_b64 s[4:5], s[6:7], s[4:5]
	s_nop 0
	v_writelane_b32 v114, s7, 1
	s_mov_b64 exec, s[4:5]
	s_cbranch_execz .LBB1_727
; %bb.10:
	s_load_dwordx2 s[4:5], s[0:1], 0x4
	s_load_dword s33, s[34:35], 0x88
	v_bfe_u32 v4, v0, 10, 10
	v_bfe_u32 v0, v0, 20, 10
	v_mov_b32_e32 v47, 0
	s_waitcnt lgkmcnt(0)
	s_lshr_b32 s0, s4, 16
	s_mul_i32 s0, s0, s5
	v_mul_lo_u32 v1, s0, v1
	v_mad_u32_u24 v1, v4, s5, v1
	s_getpc_b64 s[0:1]
	s_add_u32 s0, s0, .str.3@rel32@lo+4
	s_addc_u32 s1, s1, .str.3@rel32@hi+12
	v_add_lshl_u32 v102, v1, v0, 4
	s_cmp_lg_u64 s[0:1], 0
	v_cvt_i32_f64_e32 v0, v[2:3]
	s_mov_b32 s0, 0x9999999a
	v_cvt_f64_i32_e32 v[0:1], v0
	s_mov_b32 s1, 0x3fc99999
	v_mul_f64 v[2:3], v[0:1], s[0:1]
	v_max_f64 v[82:83], v[2:3], 2.0
	s_mov_b32 s0, 0x33333333
	v_cvt_f32_u32_e32 v2, s62
	s_mov_b32 s1, 0x3fd33333
	v_mul_f64 v[0:1], v[0:1], s[0:1]
	v_max_f64 v[84:85], v[0:1], 2.0
	v_xad_u32 v0, v78, -1, v42
	v_lshrrev_b32_e32 v1, 5, v0
	v_cmp_lt_u32_e64 s[48:49], 31, v0
	v_rcp_iflag_f32_e32 v0, v2
	v_cvt_f32_u32_e32 v2, v42
	s_cselect_b64 s[70:71], -1, 0
	s_getpc_b64 s[0:1]
	s_add_u32 s0, s0, .str.4@rel32@lo+4
	s_addc_u32 s1, s1, .str.4@rel32@hi+12
	v_mul_f32_e32 v0, 0x4f7ffffe, v0
	v_rcp_iflag_f32_e32 v2, v2
	v_cvt_u32_f32_e32 v0, v0
	s_cmp_lg_u64 s[0:1], 0
	v_mov_b32_e32 v65, v47
	s_cselect_b64 s[72:73], -1, 0
	s_cmp_gt_i32 s62, 0
	v_add_u32_e32 v1, 1, v1
	v_mul_f32_e32 v2, 0x4f7ffffe, v2
	v_lshl_add_u64 v[80:81], s[54:55], 0, v[64:65]
	s_cselect_b64 s[74:75], -1, 0
	v_and_b32_e32 v65, 0xffffffe, v1
	s_sub_i32 s0, 0, s62
	v_cvt_u32_f32_e32 v2, v2
	v_cmp_ne_u32_e64 s[50:51], v1, v65
	v_mul_lo_u32 v1, s0, v0
	v_mul_hi_u32 v1, v0, v1
	v_add_u32_e32 v103, v0, v1
	v_sub_u32_e32 v0, 0, v42
	v_mul_lo_u32 v0, v0, v2
	v_mul_hi_u32 v0, v2, v0
	v_mov_b32_e32 v79, v47
	v_mov_b32_e32 v59, 1
	v_add_u32_e32 v90, v2, v0
	v_mbcnt_lo_u32_b32 v0, -1, 0
	v_writelane_b32 v114, s18, 2
	v_cmp_lt_u32_e64 s[38:39], v78, v42
	s_mov_b32 s56, 0
	v_cmp_ne_u32_e64 s[42:43], 0, v55
	s_mov_b64 s[68:69], 0
	s_mov_b32 s41, 16
	s_mov_b32 s88, 32
	;; [unrolled: 1-line block ×3, first 2 shown]
	v_cmp_gt_i64_e64 s[44:45], s[62:63], v[78:79]
	v_cmp_eq_u32_e64 s[46:47], 0, v78
	v_lshl_or_b32 v86, v65, 5, v78
	v_or_b32_e32 v89, 32, v78
	v_mov_b32_e32 v88, v78
	v_lshl_add_u64 v[92:93], v[40:41], 0, 8
	v_mov_b32_e32 v4, s2
	v_mov_b32_e32 v104, -1
	s_mov_b64 s[76:77], 0x700
	v_mbcnt_hi_u32_b32 v105, -1, v0
	s_movk_i32 s90, 0xff1d
	s_movk_i32 s91, 0x4e
	;; [unrolled: 1-line block ×9, first 2 shown]
	v_mov_b32_e32 v106, 0x41
	v_mov_b32_e32 v107, 0x43
	v_mov_b32_e32 v108, 0x47
	v_mov_b32_e32 v109, 0x54
	s_mov_b32 s99, 0x5bd1e995
	s_movk_i32 s64, 0x58
	s_movk_i32 s65, 0x57
	v_mov_b32_e32 v58, 2
	v_mov_b32_e32 v60, 33
	;; [unrolled: 1-line block ×8, first 2 shown]
	v_writelane_b32 v114, s19, 3
	s_branch .LBB1_13
.LBB1_11:                               ;   in Loop: Header=BB1_13 Depth=1
	s_or_b64 exec, exec, s[4:5]
	s_orn2_b64 s[4:5], s[0:1], exec
.LBB1_12:                               ;   in Loop: Header=BB1_13 Depth=1
	s_or_b64 exec, exec, s[2:3]
	s_and_b64 s[0:1], exec, s[4:5]
	s_or_b64 s[68:69], s[0:1], s[68:69]
	s_andn2_b64 exec, exec, s[68:69]
	s_cbranch_execz .LBB1_726
.LBB1_13:                               ; =>This Loop Header: Depth=1
                                        ;     Child Loop BB1_16 Depth 2
                                        ;     Child Loop BB1_22 Depth 2
	;; [unrolled: 1-line block ×3, first 2 shown]
                                        ;       Child Loop BB1_41 Depth 3
                                        ;         Child Loop BB1_45 Depth 4
                                        ;         Child Loop BB1_53 Depth 4
	;; [unrolled: 1-line block ×9, first 2 shown]
                                        ;           Child Loop BB1_74 Depth 5
                                        ;           Child Loop BB1_82 Depth 5
	;; [unrolled: 1-line block ×11, first 2 shown]
                                        ;     Child Loop BB1_228 Depth 2
                                        ;       Child Loop BB1_337 Depth 3
                                        ;       Child Loop BB1_345 Depth 3
	;; [unrolled: 1-line block ×9, first 2 shown]
                                        ;         Child Loop BB1_438 Depth 4
                                        ;         Child Loop BB1_446 Depth 4
	;; [unrolled: 1-line block ×11, first 2 shown]
                                        ;     Child Loop BB1_581 Depth 2
                                        ;     Child Loop BB1_584 Depth 2
	;; [unrolled: 1-line block ×3, first 2 shown]
                                        ;       Child Loop BB1_597 Depth 3
                                        ;       Child Loop BB1_616 Depth 3
	;; [unrolled: 1-line block ×3, first 2 shown]
                                        ;         Child Loop BB1_627 Depth 4
                                        ;       Child Loop BB1_641 Depth 3
                                        ;       Child Loop BB1_660 Depth 3
	;; [unrolled: 1-line block ×3, first 2 shown]
                                        ;         Child Loop BB1_671 Depth 4
                                        ;     Child Loop BB1_712 Depth 2
	s_and_saveexec_b64 s[0:1], s[38:39]
	s_cbranch_execz .LBB1_23
; %bb.14:                               ;   in Loop: Header=BB1_13 Depth=1
	s_mov_b64 s[4:5], -1
	v_mov_b32_e32 v5, v78
	s_waitcnt vmcnt(0)
	v_mov_b64_e32 v[0:1], v[78:79]
	s_and_saveexec_b64 s[2:3], s[48:49]
	s_cbranch_execz .LBB1_20
; %bb.15:                               ;   in Loop: Header=BB1_13 Depth=1
	s_mov_b64 s[4:5], 0
	v_mov_b32_e32 v2, v65
	v_mov_b64_e32 v[0:1], v[88:89]
.LBB1_16:                               ;   Parent Loop BB1_13 Depth=1
                                        ; =>  This Inner Loop Header: Depth=2
	v_add_u32_e32 v2, -2, v2
	v_cmp_eq_u32_e32 vcc, 0, v2
	v_mad_u64_u32 v[6:7], s[6:7], v0, 56, v[40:41]
	v_mad_u64_u32 v[8:9], s[6:7], v1, 56, v[40:41]
	v_add_u32_e32 v1, 64, v1
	v_add_u32_e32 v0, 64, v0
	s_or_b64 s[4:5], vcc, s[4:5]
	global_store_dword v[6:7], v104, off offset:8
	global_store_dword v[8:9], v104, off offset:8
	s_andn2_b64 exec, exec, s[4:5]
	s_cbranch_execnz .LBB1_16
; %bb.17:                               ;   in Loop: Header=BB1_13 Depth=1
	s_or_b64 exec, exec, s[4:5]
	s_mov_b64 s[4:5], 0
                                        ; implicit-def: $vgpr0_vgpr1
	s_and_saveexec_b64 s[6:7], s[50:51]
; %bb.18:                               ;   in Loop: Header=BB1_13 Depth=1
	v_mov_b32_e32 v87, v47
	s_mov_b64 s[4:5], exec
	v_mov_b64_e32 v[0:1], v[86:87]
; %bb.19:                               ;   in Loop: Header=BB1_13 Depth=1
	s_or_b64 exec, exec, s[6:7]
	s_orn2_b64 s[4:5], s[4:5], exec
	v_mov_b32_e32 v5, v86
.LBB1_20:                               ;   in Loop: Header=BB1_13 Depth=1
	s_or_b64 exec, exec, s[2:3]
	s_and_b64 exec, exec, s[4:5]
	s_cbranch_execz .LBB1_23
; %bb.21:                               ;   in Loop: Header=BB1_13 Depth=1
	v_mad_u64_u32 v[2:3], s[2:3], v0, 56, v[92:93]
	v_mov_b32_e32 v0, v3
	v_mad_u64_u32 v[0:1], s[2:3], v1, 56, v[0:1]
	v_mov_b32_e32 v3, v0
	s_mov_b64 s[2:3], 0
.LBB1_22:                               ;   Parent Loop BB1_13 Depth=1
                                        ; =>  This Inner Loop Header: Depth=2
	v_add_u32_e32 v5, 32, v5
	v_cmp_ge_u32_e32 vcc, v5, v42
	global_store_dword v[2:3], v104, off
	s_or_b64 s[2:3], vcc, s[2:3]
	v_lshl_add_u64 v[2:3], v[2:3], 0, s[76:77]
	s_andn2_b64 exec, exec, s[2:3]
	s_cbranch_execnz .LBB1_22
.LBB1_23:                               ;   in Loop: Header=BB1_13 Depth=1
	s_or_b64 exec, exec, s[0:1]
	s_and_saveexec_b64 s[78:79], s[42:43]
	s_cbranch_execz .LBB1_224
; %bb.24:                               ;   in Loop: Header=BB1_13 Depth=1
	v_mov_b32_e32 v94, 0
	s_mov_b64 s[80:81], 0
	s_mov_b32 s66, 0
	s_branch .LBB1_27
.LBB1_25:                               ;   in Loop: Header=BB1_27 Depth=2
	s_or_b64 exec, exec, s[84:85]
	v_add_u32_e32 v94, v87, v94
.LBB1_26:                               ;   in Loop: Header=BB1_27 Depth=2
	s_or_b64 exec, exec, s[82:83]
	s_add_i32 s66, s66, 1
	v_cmp_eq_u32_e32 vcc, s66, v55
	s_or_b64 s[80:81], vcc, s[80:81]
	s_andn2_b64 exec, exec, s[80:81]
	s_cbranch_execz .LBB1_224
.LBB1_27:                               ;   Parent Loop BB1_13 Depth=1
                                        ; =>  This Loop Header: Depth=2
                                        ;       Child Loop BB1_41 Depth 3
                                        ;         Child Loop BB1_45 Depth 4
                                        ;         Child Loop BB1_53 Depth 4
	;; [unrolled: 1-line block ×9, first 2 shown]
                                        ;           Child Loop BB1_74 Depth 5
                                        ;           Child Loop BB1_82 Depth 5
	;; [unrolled: 1-line block ×11, first 2 shown]
	s_cmp_lg_u32 s66, 0
	s_cbranch_scc0 .LBB1_30
; %bb.28:                               ;   in Loop: Header=BB1_27 Depth=2
	global_load_dword v0, v[80:81], off
	s_waitcnt vmcnt(0)
	v_sub_u32_e32 v0, v0, v55
	v_add_u32_e32 v46, s66, v0
	v_lshl_add_u64 v[0:1], v[46:47], 2, s[52:53]
	v_add_u32_e32 v46, -1, v46
	v_lshl_add_u64 v[2:3], v[46:47], 2, s[52:53]
	global_load_dword v0, v[0:1], off
	s_nop 0
	global_load_dword v1, v[2:3], off
	s_waitcnt vmcnt(0)
	v_sub_u32_e32 v87, v0, v1
	s_cbranch_execz .LBB1_31
; %bb.29:                               ;   in Loop: Header=BB1_27 Depth=2
	v_cmp_ge_i32_e32 vcc, v87, v4
	s_and_saveexec_b64 s[82:83], vcc
	s_cbranch_execz .LBB1_26
	s_branch .LBB1_38
.LBB1_30:                               ;   in Loop: Header=BB1_27 Depth=2
                                        ; implicit-def: $vgpr87
.LBB1_31:                               ;   in Loop: Header=BB1_27 Depth=2
                                        ; implicit-def: $vgpr87
	s_and_saveexec_b64 s[0:1], s[36:37]
	s_xor_b64 s[0:1], exec, s[0:1]
	s_cbranch_execz .LBB1_35
; %bb.32:                               ;   in Loop: Header=BB1_27 Depth=2
	global_load_dwordx2 v[0:1], v[80:81], off offset:-4
	s_waitcnt vmcnt(0)
	v_sub_u32_e32 v46, v1, v55
	v_lshl_add_u64 v[2:3], v[46:47], 2, s[52:53]
	global_load_dword v87, v[2:3], off
	v_cmp_ne_u32_e32 vcc, 0, v0
	s_and_saveexec_b64 s[2:3], vcc
	s_cbranch_execz .LBB1_34
; %bb.33:                               ;   in Loop: Header=BB1_27 Depth=2
	v_add_u32_e32 v46, -1, v0
	v_lshl_add_u64 v[0:1], v[46:47], 2, s[52:53]
	global_load_dword v0, v[0:1], off
	s_waitcnt vmcnt(0)
	v_sub_u32_e32 v87, v87, v0
.LBB1_34:                               ;   in Loop: Header=BB1_27 Depth=2
	s_or_b64 exec, exec, s[2:3]
.LBB1_35:                               ;   in Loop: Header=BB1_27 Depth=2
	s_andn2_saveexec_b64 s[0:1], s[0:1]
	s_cbranch_execz .LBB1_37
; %bb.36:                               ;   in Loop: Header=BB1_27 Depth=2
	global_load_dword v0, v47, s[54:55]
	s_waitcnt vmcnt(0)
	v_sub_u32_e32 v46, v0, v55
	v_lshl_add_u64 v[0:1], v[46:47], 2, s[52:53]
	global_load_dword v87, v[0:1], off
.LBB1_37:                               ;   in Loop: Header=BB1_27 Depth=2
	s_or_b64 exec, exec, s[0:1]
	s_waitcnt vmcnt(0)
	v_cmp_ge_i32_e32 vcc, v87, v4
	s_and_saveexec_b64 s[82:83], vcc
	s_cbranch_execz .LBB1_26
.LBB1_38:                               ;   in Loop: Header=BB1_27 Depth=2
	v_sub_u32_e32 v113, v87, v4
	v_cmp_lt_i32_e32 vcc, v78, v113
	s_and_saveexec_b64 s[84:85], vcc
	s_cbranch_execz .LBB1_25
; %bb.39:                               ;   in Loop: Header=BB1_27 Depth=2
	v_mov_b32_e32 v95, v47
	v_lshl_add_u64 v[96:97], v[66:67], 0, v[94:95]
	v_lshl_add_u64 v[98:99], v[68:69], 0, v[94:95]
	s_mov_b64 s[86:87], 0
	v_mov_b32_e32 v100, v78
	s_branch .LBB1_41
.LBB1_40:                               ;   in Loop: Header=BB1_41 Depth=3
	s_or_b64 exec, exec, s[0:1]
	v_add_u32_e32 v100, 32, v100
	v_cmp_ge_i32_e32 vcc, v100, v113
	s_or_b64 s[86:87], vcc, s[86:87]
	s_andn2_b64 exec, exec, s[86:87]
	s_cbranch_execz .LBB1_25
.LBB1_41:                               ;   Parent Loop BB1_13 Depth=1
                                        ;     Parent Loop BB1_27 Depth=2
                                        ; =>    This Loop Header: Depth=3
                                        ;         Child Loop BB1_45 Depth 4
                                        ;         Child Loop BB1_53 Depth 4
	;; [unrolled: 1-line block ×9, first 2 shown]
                                        ;           Child Loop BB1_74 Depth 5
                                        ;           Child Loop BB1_82 Depth 5
	;; [unrolled: 1-line block ×11, first 2 shown]
	s_add_u32 s8, s34, 0xb0
	v_mov_b32_e32 v101, v47
	s_addc_u32 s9, s35, 0
	v_lshl_add_u64 v[2:3], v[96:97], 0, v[100:101]
	s_getpc_b64 s[0:1]
	s_add_u32 s0, s0, _Z13ht_get_atomicP6loc_ht9cstr_typej@rel32@lo+4
	s_addc_u32 s1, s1, _Z13ht_get_atomicP6loc_ht9cstr_typej@rel32@hi+12
	v_mov_b32_e32 v0, v40
	s_waitcnt vmcnt(0)
	v_mov_b32_e32 v1, v41
	v_mov_b32_e32 v5, v42
	s_swappc_b64 s[30:31], s[0:1]
	v_add_u32_e32 v2, v100, v4
	v_cmp_ge_i32_e32 vcc, v2, v87
	s_and_saveexec_b64 s[2:3], vcc
	s_cbranch_execz .LBB1_181
; %bb.42:                               ;   in Loop: Header=BB1_41 Depth=3
	s_load_dwordx2 s[4:5], s[60:61], 0x50
	v_readfirstlane_b32 s0, v105
	v_mov_b64_e32 v[10:11], 0
	s_nop 0
	v_cmp_eq_u32_e64 s[0:1], s0, v105
	s_and_saveexec_b64 s[6:7], s[0:1]
	s_cbranch_execz .LBB1_48
; %bb.43:                               ;   in Loop: Header=BB1_41 Depth=3
	s_waitcnt lgkmcnt(0)
	global_load_dwordx2 v[8:9], v47, s[4:5] offset:24 sc0 sc1
	s_waitcnt vmcnt(0)
	buffer_inv sc0 sc1
	global_load_dwordx2 v[6:7], v47, s[4:5] offset:40
	global_load_dwordx2 v[10:11], v47, s[4:5]
	s_waitcnt vmcnt(1)
	v_and_b32_e32 v3, v6, v8
	v_and_b32_e32 v5, v7, v9
	v_mul_lo_u32 v5, v5, 24
	v_mul_hi_u32 v6, v3, 24
	v_add_u32_e32 v7, v6, v5
	v_mul_lo_u32 v6, v3, 24
	s_waitcnt vmcnt(0)
	v_lshl_add_u64 v[6:7], v[10:11], 0, v[6:7]
	global_load_dwordx2 v[6:7], v[6:7], off sc0 sc1
	s_waitcnt vmcnt(0)
	global_atomic_cmpswap_x2 v[10:11], v47, v[6:9], s[4:5] offset:24 sc0 sc1
	s_waitcnt vmcnt(0)
	buffer_inv sc0 sc1
	v_cmp_ne_u64_e32 vcc, v[10:11], v[8:9]
	s_and_saveexec_b64 s[8:9], vcc
	s_cbranch_execz .LBB1_47
; %bb.44:                               ;   in Loop: Header=BB1_41 Depth=3
	s_mov_b64 s[10:11], 0
.LBB1_45:                               ;   Parent Loop BB1_13 Depth=1
                                        ;     Parent Loop BB1_27 Depth=2
                                        ;       Parent Loop BB1_41 Depth=3
                                        ; =>      This Inner Loop Header: Depth=4
	s_sleep 1
	global_load_dwordx2 v[6:7], v47, s[4:5] offset:40
	global_load_dwordx2 v[12:13], v47, s[4:5]
	v_mov_b64_e32 v[8:9], v[10:11]
	s_waitcnt vmcnt(1)
	v_and_b32_e32 v5, v6, v8
	v_and_b32_e32 v3, v7, v9
	s_waitcnt vmcnt(0)
	v_mad_u64_u32 v[6:7], s[12:13], v5, 24, v[12:13]
	v_mov_b32_e32 v10, v7
	v_mad_u64_u32 v[10:11], s[12:13], v3, 24, v[10:11]
	v_mov_b32_e32 v7, v10
	global_load_dwordx2 v[6:7], v[6:7], off sc0 sc1
	s_waitcnt vmcnt(0)
	global_atomic_cmpswap_x2 v[10:11], v47, v[6:9], s[4:5] offset:24 sc0 sc1
	s_waitcnt vmcnt(0)
	buffer_inv sc0 sc1
	v_cmp_eq_u64_e32 vcc, v[10:11], v[8:9]
	s_or_b64 s[10:11], vcc, s[10:11]
	s_andn2_b64 exec, exec, s[10:11]
	s_cbranch_execnz .LBB1_45
; %bb.46:                               ;   in Loop: Header=BB1_41 Depth=3
	s_or_b64 exec, exec, s[10:11]
.LBB1_47:                               ;   in Loop: Header=BB1_41 Depth=3
	s_or_b64 exec, exec, s[8:9]
.LBB1_48:                               ;   in Loop: Header=BB1_41 Depth=3
	s_or_b64 exec, exec, s[6:7]
	s_waitcnt lgkmcnt(0)
	global_load_dwordx2 v[12:13], v47, s[4:5] offset:40
	global_load_dwordx4 v[6:9], v47, s[4:5]
	v_readfirstlane_b32 s7, v11
	v_readfirstlane_b32 s6, v10
	s_mov_b64 s[8:9], exec
	s_waitcnt vmcnt(1)
	v_readfirstlane_b32 s10, v12
	v_readfirstlane_b32 s11, v13
	s_and_b64 s[10:11], s[10:11], s[6:7]
	s_mul_i32 s12, s11, 24
	s_mul_hi_u32 s13, s10, 24
	s_add_i32 s13, s13, s12
	s_mul_i32 s12, s10, 24
	s_waitcnt vmcnt(0)
	v_lshl_add_u64 v[10:11], v[6:7], 0, s[12:13]
	s_and_saveexec_b64 s[12:13], s[0:1]
	s_cbranch_execz .LBB1_50
; %bb.49:                               ;   in Loop: Header=BB1_41 Depth=3
	v_mov_b64_e32 v[56:57], s[8:9]
	global_store_dwordx4 v[10:11], v[56:59], off offset:8
.LBB1_50:                               ;   in Loop: Header=BB1_41 Depth=3
	s_or_b64 exec, exec, s[12:13]
	s_lshl_b64 s[8:9], s[10:11], 12
	s_mov_b32 s57, s56
	v_lshl_add_u64 v[12:13], v[8:9], 0, s[8:9]
	s_mov_b32 s58, s56
	s_mov_b32 s59, s56
	v_mov_b64_e32 v[14:15], s[56:57]
	v_lshlrev_b32_e32 v26, 6, v105
	v_readfirstlane_b32 s8, v12
	v_readfirstlane_b32 s9, v13
	v_mov_b64_e32 v[16:17], s[58:59]
	s_nop 3
	global_store_dwordx4 v26, v[60:63], s[8:9]
	global_store_dwordx4 v26, v[14:17], s[8:9] offset:16
	global_store_dwordx4 v26, v[14:17], s[8:9] offset:32
	global_store_dwordx4 v26, v[14:17], s[8:9] offset:48
	s_and_saveexec_b64 s[8:9], s[0:1]
	s_cbranch_execz .LBB1_58
; %bb.51:                               ;   in Loop: Header=BB1_41 Depth=3
	global_load_dwordx2 v[18:19], v47, s[4:5] offset:32 sc0 sc1
	global_load_dwordx2 v[8:9], v47, s[4:5] offset:40
	v_mov_b32_e32 v16, s6
	v_mov_b32_e32 v17, s7
	s_waitcnt vmcnt(0)
	v_and_b32_e32 v3, s6, v8
	v_and_b32_e32 v5, s7, v9
	v_mul_lo_u32 v5, v5, 24
	v_mul_hi_u32 v9, v3, 24
	v_mul_lo_u32 v8, v3, 24
	v_add_u32_e32 v9, v9, v5
	v_lshl_add_u64 v[14:15], v[6:7], 0, v[8:9]
	global_store_dwordx2 v[14:15], v[18:19], off
	buffer_wbl2 sc0 sc1
	s_waitcnt vmcnt(0)
	global_atomic_cmpswap_x2 v[8:9], v47, v[16:19], s[4:5] offset:32 sc0 sc1
	s_waitcnt vmcnt(0)
	v_cmp_ne_u64_e32 vcc, v[8:9], v[18:19]
	s_and_saveexec_b64 s[10:11], vcc
	s_cbranch_execz .LBB1_54
; %bb.52:                               ;   in Loop: Header=BB1_41 Depth=3
	s_mov_b64 s[12:13], 0
.LBB1_53:                               ;   Parent Loop BB1_13 Depth=1
                                        ;     Parent Loop BB1_27 Depth=2
                                        ;       Parent Loop BB1_41 Depth=3
                                        ; =>      This Inner Loop Header: Depth=4
	s_sleep 1
	global_store_dwordx2 v[14:15], v[8:9], off
	v_mov_b32_e32 v6, s6
	v_mov_b32_e32 v7, s7
	buffer_wbl2 sc0 sc1
	s_waitcnt vmcnt(0)
	global_atomic_cmpswap_x2 v[6:7], v47, v[6:9], s[4:5] offset:32 sc0 sc1
	s_waitcnt vmcnt(0)
	v_cmp_eq_u64_e32 vcc, v[6:7], v[8:9]
	s_or_b64 s[12:13], vcc, s[12:13]
	v_mov_b64_e32 v[8:9], v[6:7]
	s_andn2_b64 exec, exec, s[12:13]
	s_cbranch_execnz .LBB1_53
.LBB1_54:                               ;   in Loop: Header=BB1_41 Depth=3
	s_or_b64 exec, exec, s[10:11]
	global_load_dwordx2 v[6:7], v47, s[4:5] offset:16
	s_mov_b64 s[12:13], exec
	v_mbcnt_lo_u32_b32 v3, s12, 0
	v_mbcnt_hi_u32_b32 v3, s13, v3
	v_cmp_eq_u32_e32 vcc, 0, v3
	s_and_saveexec_b64 s[10:11], vcc
	s_cbranch_execz .LBB1_56
; %bb.55:                               ;   in Loop: Header=BB1_41 Depth=3
	s_bcnt1_i32_b64 s12, s[12:13]
	v_mov_b32_e32 v46, s12
	buffer_wbl2 sc0 sc1
	s_waitcnt vmcnt(0)
	global_atomic_add_x2 v[6:7], v[46:47], off offset:8 sc1
.LBB1_56:                               ;   in Loop: Header=BB1_41 Depth=3
	s_or_b64 exec, exec, s[10:11]
	s_waitcnt vmcnt(0)
	global_load_dwordx2 v[8:9], v[6:7], off offset:16
	s_waitcnt vmcnt(0)
	v_cmp_eq_u64_e32 vcc, 0, v[8:9]
	s_cbranch_vccnz .LBB1_58
; %bb.57:                               ;   in Loop: Header=BB1_41 Depth=3
	global_load_dword v46, v[6:7], off offset:24
	s_waitcnt vmcnt(0)
	v_readfirstlane_b32 s10, v46
	s_and_b32 m0, s10, 0xffffff
	buffer_wbl2 sc0 sc1
	global_store_dwordx2 v[8:9], v[46:47], off sc0 sc1
	s_sendmsg sendmsg(MSG_INTERRUPT)
.LBB1_58:                               ;   in Loop: Header=BB1_41 Depth=3
	s_or_b64 exec, exec, s[8:9]
	v_mov_b32_e32 v27, v47
	v_lshl_add_u64 v[6:7], v[12:13], 0, v[26:27]
	s_branch .LBB1_62
.LBB1_59:                               ;   in Loop: Header=BB1_62 Depth=4
	s_or_b64 exec, exec, s[8:9]
	v_readfirstlane_b32 s8, v3
	s_cmp_eq_u32 s8, 0
	s_cbranch_scc1 .LBB1_61
; %bb.60:                               ;   in Loop: Header=BB1_62 Depth=4
	s_sleep 1
	s_cbranch_execnz .LBB1_62
	s_branch .LBB1_64
.LBB1_61:                               ;   in Loop: Header=BB1_41 Depth=3
	s_branch .LBB1_64
.LBB1_62:                               ;   Parent Loop BB1_13 Depth=1
                                        ;     Parent Loop BB1_27 Depth=2
                                        ;       Parent Loop BB1_41 Depth=3
                                        ; =>      This Inner Loop Header: Depth=4
	v_mov_b32_e32 v3, 1
	s_and_saveexec_b64 s[8:9], s[0:1]
	s_cbranch_execz .LBB1_59
; %bb.63:                               ;   in Loop: Header=BB1_62 Depth=4
	global_load_dword v3, v[10:11], off offset:20 sc0 sc1
	s_waitcnt vmcnt(0)
	buffer_inv sc0 sc1
	v_and_b32_e32 v3, 1, v3
	s_branch .LBB1_59
.LBB1_64:                               ;   in Loop: Header=BB1_41 Depth=3
	global_load_dwordx2 v[44:45], v[6:7], off
	s_and_saveexec_b64 s[8:9], s[0:1]
	s_cbranch_execz .LBB1_68
; %bb.65:                               ;   in Loop: Header=BB1_41 Depth=3
	global_load_dwordx2 v[6:7], v47, s[4:5] offset:40
	global_load_dwordx2 v[14:15], v47, s[4:5] offset:24 sc0 sc1
	global_load_dwordx2 v[8:9], v47, s[4:5]
	s_waitcnt vmcnt(2)
	v_readfirstlane_b32 s10, v6
	v_readfirstlane_b32 s11, v7
	s_add_u32 s12, s10, 1
	s_addc_u32 s13, s11, 0
	s_add_u32 s0, s12, s6
	s_addc_u32 s1, s13, s7
	s_cmp_eq_u64 s[0:1], 0
	s_cselect_b32 s1, s13, s1
	s_cselect_b32 s0, s12, s0
	s_and_b64 s[6:7], s[0:1], s[10:11]
	s_mul_i32 s7, s7, 24
	s_mul_hi_u32 s10, s6, 24
	s_mul_i32 s6, s6, 24
	s_add_i32 s7, s10, s7
	s_waitcnt vmcnt(0)
	v_lshl_add_u64 v[10:11], v[8:9], 0, s[6:7]
	v_mov_b32_e32 v12, s0
	global_store_dwordx2 v[10:11], v[14:15], off
	v_mov_b32_e32 v13, s1
	buffer_wbl2 sc0 sc1
	s_waitcnt vmcnt(0)
	global_atomic_cmpswap_x2 v[8:9], v47, v[12:15], s[4:5] offset:24 sc0 sc1
	s_waitcnt vmcnt(0)
	v_cmp_ne_u64_e32 vcc, v[8:9], v[14:15]
	s_and_b64 exec, exec, vcc
	s_cbranch_execz .LBB1_68
; %bb.66:                               ;   in Loop: Header=BB1_41 Depth=3
	s_mov_b64 s[6:7], 0
.LBB1_67:                               ;   Parent Loop BB1_13 Depth=1
                                        ;     Parent Loop BB1_27 Depth=2
                                        ;       Parent Loop BB1_41 Depth=3
                                        ; =>      This Inner Loop Header: Depth=4
	s_sleep 1
	global_store_dwordx2 v[10:11], v[8:9], off
	v_mov_b32_e32 v6, s0
	v_mov_b32_e32 v7, s1
	buffer_wbl2 sc0 sc1
	s_waitcnt vmcnt(0)
	global_atomic_cmpswap_x2 v[6:7], v47, v[6:9], s[4:5] offset:24 sc0 sc1
	s_waitcnt vmcnt(0)
	v_cmp_eq_u64_e32 vcc, v[6:7], v[8:9]
	s_or_b64 s[6:7], vcc, s[6:7]
	v_mov_b64_e32 v[8:9], v[6:7]
	s_andn2_b64 exec, exec, s[6:7]
	s_cbranch_execnz .LBB1_67
.LBB1_68:                               ;   in Loop: Header=BB1_41 Depth=3
	s_or_b64 exec, exec, s[8:9]
	s_and_b64 vcc, exec, s[70:71]
	s_cbranch_vccz .LBB1_154
; %bb.69:                               ;   in Loop: Header=BB1_41 Depth=3
	s_waitcnt vmcnt(0)
	v_and_b32_e32 v6, -3, v44
	v_mov_b32_e32 v7, v45
	s_mov_b64 s[8:9], 45
	s_getpc_b64 s[6:7]
	s_add_u32 s6, s6, .str.3@rel32@lo+4
	s_addc_u32 s7, s7, .str.3@rel32@hi+12
	s_branch .LBB1_71
.LBB1_70:                               ;   in Loop: Header=BB1_71 Depth=4
	s_or_b64 exec, exec, s[14:15]
	s_sub_u32 s8, s8, s10
	s_subb_u32 s9, s9, s11
	s_add_u32 s6, s6, s10
	s_addc_u32 s7, s7, s11
	s_cmp_lg_u64 s[8:9], 0
	s_cbranch_scc0 .LBB1_153
.LBB1_71:                               ;   Parent Loop BB1_13 Depth=1
                                        ;     Parent Loop BB1_27 Depth=2
                                        ;       Parent Loop BB1_41 Depth=3
                                        ; =>      This Loop Header: Depth=4
                                        ;           Child Loop BB1_74 Depth 5
                                        ;           Child Loop BB1_82 Depth 5
	;; [unrolled: 1-line block ×11, first 2 shown]
	v_cmp_lt_u64_e64 s[0:1], s[8:9], 56
	s_and_b64 s[0:1], s[0:1], exec
	s_cselect_b32 s11, s9, 0
	s_cselect_b32 s10, s8, 56
	v_cmp_gt_u64_e64 s[12:13], s[8:9], 7
	s_add_u32 s0, s6, 8
	s_addc_u32 s1, s7, 0
	s_and_b64 vcc, exec, s[12:13]
	s_cbranch_vccnz .LBB1_75
; %bb.72:                               ;   in Loop: Header=BB1_71 Depth=4
	s_cmp_eq_u64 s[8:9], 0
	s_cbranch_scc1 .LBB1_76
; %bb.73:                               ;   in Loop: Header=BB1_71 Depth=4
	s_lshl_b64 s[0:1], s[10:11], 3
	s_mov_b64 s[12:13], 0
	s_waitcnt vmcnt(0)
	v_mov_b64_e32 v[8:9], 0
	s_mov_b64 s[14:15], s[6:7]
.LBB1_74:                               ;   Parent Loop BB1_13 Depth=1
                                        ;     Parent Loop BB1_27 Depth=2
                                        ;       Parent Loop BB1_41 Depth=3
                                        ;         Parent Loop BB1_71 Depth=4
                                        ; =>        This Inner Loop Header: Depth=5
	global_load_ubyte v3, v47, s[14:15]
	s_waitcnt vmcnt(0)
	v_and_b32_e32 v46, 0xffff, v3
	v_lshlrev_b64 v[10:11], s12, v[46:47]
	s_add_u32 s12, s12, 8
	s_addc_u32 s13, s13, 0
	s_add_u32 s14, s14, 1
	s_addc_u32 s15, s15, 0
	v_or_b32_e32 v8, v10, v8
	s_cmp_lg_u32 s0, s12
	v_or_b32_e32 v9, v11, v9
	s_cbranch_scc1 .LBB1_74
	s_branch .LBB1_77
.LBB1_75:                               ;   in Loop: Header=BB1_71 Depth=4
	s_mov_b32 s16, 0
	s_branch .LBB1_78
.LBB1_76:                               ;   in Loop: Header=BB1_71 Depth=4
	s_waitcnt vmcnt(0)
	v_mov_b64_e32 v[8:9], 0
.LBB1_77:                               ;   in Loop: Header=BB1_71 Depth=4
	s_mov_b64 s[0:1], s[6:7]
	s_mov_b32 s16, 0
	s_cbranch_execnz .LBB1_79
.LBB1_78:                               ;   in Loop: Header=BB1_71 Depth=4
	global_load_dwordx2 v[8:9], v47, s[6:7]
	s_add_i32 s16, s10, -8
.LBB1_79:                               ;   in Loop: Header=BB1_71 Depth=4
	s_add_u32 s12, s0, 8
	s_addc_u32 s13, s1, 0
	s_cmp_gt_u32 s16, 7
	s_cbranch_scc1 .LBB1_83
; %bb.80:                               ;   in Loop: Header=BB1_71 Depth=4
	s_cmp_eq_u32 s16, 0
	s_cbranch_scc1 .LBB1_84
; %bb.81:                               ;   in Loop: Header=BB1_71 Depth=4
	s_mov_b64 s[12:13], 0
	v_mov_b64_e32 v[10:11], 0
	s_mov_b64 s[14:15], 0
.LBB1_82:                               ;   Parent Loop BB1_13 Depth=1
                                        ;     Parent Loop BB1_27 Depth=2
                                        ;       Parent Loop BB1_41 Depth=3
                                        ;         Parent Loop BB1_71 Depth=4
                                        ; =>        This Inner Loop Header: Depth=5
	s_add_u32 s18, s0, s14
	s_addc_u32 s19, s1, s15
	global_load_ubyte v3, v47, s[18:19]
	s_add_u32 s14, s14, 1
	s_addc_u32 s15, s15, 0
	s_waitcnt vmcnt(0)
	v_and_b32_e32 v46, 0xffff, v3
	v_lshlrev_b64 v[12:13], s12, v[46:47]
	s_add_u32 s12, s12, 8
	s_addc_u32 s13, s13, 0
	v_or_b32_e32 v10, v12, v10
	s_cmp_lg_u32 s16, s14
	v_or_b32_e32 v11, v13, v11
	s_cbranch_scc1 .LBB1_82
	s_branch .LBB1_85
.LBB1_83:                               ;   in Loop: Header=BB1_71 Depth=4
                                        ; implicit-def: $vgpr10_vgpr11
	s_mov_b32 s17, 0
	s_branch .LBB1_86
.LBB1_84:                               ;   in Loop: Header=BB1_71 Depth=4
	v_mov_b64_e32 v[10:11], 0
.LBB1_85:                               ;   in Loop: Header=BB1_71 Depth=4
	s_mov_b64 s[12:13], s[0:1]
	s_mov_b32 s17, 0
	s_cbranch_execnz .LBB1_87
.LBB1_86:                               ;   in Loop: Header=BB1_71 Depth=4
	global_load_dwordx2 v[10:11], v47, s[0:1]
	s_add_i32 s17, s16, -8
.LBB1_87:                               ;   in Loop: Header=BB1_71 Depth=4
	s_add_u32 s0, s12, 8
	s_addc_u32 s1, s13, 0
	s_cmp_gt_u32 s17, 7
	s_cbranch_scc1 .LBB1_91
; %bb.88:                               ;   in Loop: Header=BB1_71 Depth=4
	s_cmp_eq_u32 s17, 0
	s_cbranch_scc1 .LBB1_92
; %bb.89:                               ;   in Loop: Header=BB1_71 Depth=4
	s_mov_b64 s[0:1], 0
	v_mov_b64_e32 v[12:13], 0
	s_mov_b64 s[14:15], 0
.LBB1_90:                               ;   Parent Loop BB1_13 Depth=1
                                        ;     Parent Loop BB1_27 Depth=2
                                        ;       Parent Loop BB1_41 Depth=3
                                        ;         Parent Loop BB1_71 Depth=4
                                        ; =>        This Inner Loop Header: Depth=5
	s_add_u32 s18, s12, s14
	s_addc_u32 s19, s13, s15
	global_load_ubyte v3, v47, s[18:19]
	s_add_u32 s14, s14, 1
	s_addc_u32 s15, s15, 0
	s_waitcnt vmcnt(0)
	v_and_b32_e32 v46, 0xffff, v3
	v_lshlrev_b64 v[14:15], s0, v[46:47]
	s_add_u32 s0, s0, 8
	s_addc_u32 s1, s1, 0
	v_or_b32_e32 v12, v14, v12
	s_cmp_lg_u32 s17, s14
	v_or_b32_e32 v13, v15, v13
	s_cbranch_scc1 .LBB1_90
	s_branch .LBB1_93
.LBB1_91:                               ;   in Loop: Header=BB1_71 Depth=4
	s_mov_b32 s16, 0
	s_branch .LBB1_94
.LBB1_92:                               ;   in Loop: Header=BB1_71 Depth=4
	v_mov_b64_e32 v[12:13], 0
.LBB1_93:                               ;   in Loop: Header=BB1_71 Depth=4
	s_mov_b64 s[0:1], s[12:13]
	s_mov_b32 s16, 0
	s_cbranch_execnz .LBB1_95
.LBB1_94:                               ;   in Loop: Header=BB1_71 Depth=4
	global_load_dwordx2 v[12:13], v47, s[12:13]
	s_add_i32 s16, s17, -8
.LBB1_95:                               ;   in Loop: Header=BB1_71 Depth=4
	s_add_u32 s12, s0, 8
	s_addc_u32 s13, s1, 0
	s_cmp_gt_u32 s16, 7
	s_cbranch_scc1 .LBB1_99
; %bb.96:                               ;   in Loop: Header=BB1_71 Depth=4
	s_cmp_eq_u32 s16, 0
	s_cbranch_scc1 .LBB1_100
; %bb.97:                               ;   in Loop: Header=BB1_71 Depth=4
	s_mov_b64 s[12:13], 0
	v_mov_b64_e32 v[14:15], 0
	s_mov_b64 s[14:15], 0
.LBB1_98:                               ;   Parent Loop BB1_13 Depth=1
                                        ;     Parent Loop BB1_27 Depth=2
                                        ;       Parent Loop BB1_41 Depth=3
                                        ;         Parent Loop BB1_71 Depth=4
                                        ; =>        This Inner Loop Header: Depth=5
	s_add_u32 s18, s0, s14
	s_addc_u32 s19, s1, s15
	global_load_ubyte v3, v47, s[18:19]
	s_add_u32 s14, s14, 1
	s_addc_u32 s15, s15, 0
	s_waitcnt vmcnt(0)
	v_and_b32_e32 v46, 0xffff, v3
	v_lshlrev_b64 v[16:17], s12, v[46:47]
	s_add_u32 s12, s12, 8
	s_addc_u32 s13, s13, 0
	v_or_b32_e32 v14, v16, v14
	s_cmp_lg_u32 s16, s14
	v_or_b32_e32 v15, v17, v15
	s_cbranch_scc1 .LBB1_98
	s_branch .LBB1_101
.LBB1_99:                               ;   in Loop: Header=BB1_71 Depth=4
                                        ; implicit-def: $vgpr14_vgpr15
	s_mov_b32 s17, 0
	s_branch .LBB1_102
.LBB1_100:                              ;   in Loop: Header=BB1_71 Depth=4
	v_mov_b64_e32 v[14:15], 0
.LBB1_101:                              ;   in Loop: Header=BB1_71 Depth=4
	s_mov_b64 s[12:13], s[0:1]
	s_mov_b32 s17, 0
	s_cbranch_execnz .LBB1_103
.LBB1_102:                              ;   in Loop: Header=BB1_71 Depth=4
	global_load_dwordx2 v[14:15], v47, s[0:1]
	s_add_i32 s17, s16, -8
.LBB1_103:                              ;   in Loop: Header=BB1_71 Depth=4
	s_add_u32 s0, s12, 8
	s_addc_u32 s1, s13, 0
	s_cmp_gt_u32 s17, 7
	s_cbranch_scc1 .LBB1_107
; %bb.104:                              ;   in Loop: Header=BB1_71 Depth=4
	s_cmp_eq_u32 s17, 0
	s_cbranch_scc1 .LBB1_108
; %bb.105:                              ;   in Loop: Header=BB1_71 Depth=4
	s_mov_b64 s[0:1], 0
	v_mov_b64_e32 v[16:17], 0
	s_mov_b64 s[14:15], 0
.LBB1_106:                              ;   Parent Loop BB1_13 Depth=1
                                        ;     Parent Loop BB1_27 Depth=2
                                        ;       Parent Loop BB1_41 Depth=3
                                        ;         Parent Loop BB1_71 Depth=4
                                        ; =>        This Inner Loop Header: Depth=5
	s_add_u32 s18, s12, s14
	s_addc_u32 s19, s13, s15
	global_load_ubyte v3, v47, s[18:19]
	s_add_u32 s14, s14, 1
	s_addc_u32 s15, s15, 0
	s_waitcnt vmcnt(0)
	v_and_b32_e32 v46, 0xffff, v3
	v_lshlrev_b64 v[18:19], s0, v[46:47]
	s_add_u32 s0, s0, 8
	s_addc_u32 s1, s1, 0
	v_or_b32_e32 v16, v18, v16
	s_cmp_lg_u32 s17, s14
	v_or_b32_e32 v17, v19, v17
	s_cbranch_scc1 .LBB1_106
	s_branch .LBB1_109
.LBB1_107:                              ;   in Loop: Header=BB1_71 Depth=4
	s_mov_b32 s16, 0
	s_branch .LBB1_110
.LBB1_108:                              ;   in Loop: Header=BB1_71 Depth=4
	v_mov_b64_e32 v[16:17], 0
.LBB1_109:                              ;   in Loop: Header=BB1_71 Depth=4
	s_mov_b64 s[0:1], s[12:13]
	s_mov_b32 s16, 0
	s_cbranch_execnz .LBB1_111
.LBB1_110:                              ;   in Loop: Header=BB1_71 Depth=4
	global_load_dwordx2 v[16:17], v47, s[12:13]
	s_add_i32 s16, s17, -8
.LBB1_111:                              ;   in Loop: Header=BB1_71 Depth=4
	s_add_u32 s12, s0, 8
	s_addc_u32 s13, s1, 0
	s_cmp_gt_u32 s16, 7
	s_cbranch_scc1 .LBB1_115
; %bb.112:                              ;   in Loop: Header=BB1_71 Depth=4
	s_cmp_eq_u32 s16, 0
	s_cbranch_scc1 .LBB1_116
; %bb.113:                              ;   in Loop: Header=BB1_71 Depth=4
	s_mov_b64 s[12:13], 0
	v_mov_b64_e32 v[18:19], 0
	s_mov_b64 s[14:15], 0
.LBB1_114:                              ;   Parent Loop BB1_13 Depth=1
                                        ;     Parent Loop BB1_27 Depth=2
                                        ;       Parent Loop BB1_41 Depth=3
                                        ;         Parent Loop BB1_71 Depth=4
                                        ; =>        This Inner Loop Header: Depth=5
	s_add_u32 s18, s0, s14
	s_addc_u32 s19, s1, s15
	global_load_ubyte v3, v47, s[18:19]
	s_add_u32 s14, s14, 1
	s_addc_u32 s15, s15, 0
	s_waitcnt vmcnt(0)
	v_and_b32_e32 v46, 0xffff, v3
	v_lshlrev_b64 v[20:21], s12, v[46:47]
	s_add_u32 s12, s12, 8
	s_addc_u32 s13, s13, 0
	v_or_b32_e32 v18, v20, v18
	s_cmp_lg_u32 s16, s14
	v_or_b32_e32 v19, v21, v19
	s_cbranch_scc1 .LBB1_114
	s_branch .LBB1_117
.LBB1_115:                              ;   in Loop: Header=BB1_71 Depth=4
                                        ; implicit-def: $vgpr18_vgpr19
	s_mov_b32 s17, 0
	s_branch .LBB1_118
.LBB1_116:                              ;   in Loop: Header=BB1_71 Depth=4
	v_mov_b64_e32 v[18:19], 0
.LBB1_117:                              ;   in Loop: Header=BB1_71 Depth=4
	s_mov_b64 s[12:13], s[0:1]
	s_mov_b32 s17, 0
	s_cbranch_execnz .LBB1_119
.LBB1_118:                              ;   in Loop: Header=BB1_71 Depth=4
	global_load_dwordx2 v[18:19], v47, s[0:1]
	s_add_i32 s17, s16, -8
.LBB1_119:                              ;   in Loop: Header=BB1_71 Depth=4
	s_cmp_gt_u32 s17, 7
	s_cbranch_scc1 .LBB1_123
; %bb.120:                              ;   in Loop: Header=BB1_71 Depth=4
	s_cmp_eq_u32 s17, 0
	s_cbranch_scc1 .LBB1_124
; %bb.121:                              ;   in Loop: Header=BB1_71 Depth=4
	s_mov_b64 s[0:1], 0
	v_mov_b64_e32 v[20:21], 0
	s_mov_b64 s[14:15], s[12:13]
.LBB1_122:                              ;   Parent Loop BB1_13 Depth=1
                                        ;     Parent Loop BB1_27 Depth=2
                                        ;       Parent Loop BB1_41 Depth=3
                                        ;         Parent Loop BB1_71 Depth=4
                                        ; =>        This Inner Loop Header: Depth=5
	global_load_ubyte v3, v47, s[14:15]
	s_add_i32 s17, s17, -1
	s_waitcnt vmcnt(0)
	v_and_b32_e32 v46, 0xffff, v3
	v_lshlrev_b64 v[22:23], s0, v[46:47]
	s_add_u32 s0, s0, 8
	s_addc_u32 s1, s1, 0
	s_add_u32 s14, s14, 1
	s_addc_u32 s15, s15, 0
	v_or_b32_e32 v20, v22, v20
	s_cmp_lg_u32 s17, 0
	v_or_b32_e32 v21, v23, v21
	s_cbranch_scc1 .LBB1_122
	s_branch .LBB1_125
.LBB1_123:                              ;   in Loop: Header=BB1_71 Depth=4
	s_branch .LBB1_126
.LBB1_124:                              ;   in Loop: Header=BB1_71 Depth=4
	v_mov_b64_e32 v[20:21], 0
.LBB1_125:                              ;   in Loop: Header=BB1_71 Depth=4
	s_cbranch_execnz .LBB1_127
.LBB1_126:                              ;   in Loop: Header=BB1_71 Depth=4
	global_load_dwordx2 v[20:21], v47, s[12:13]
.LBB1_127:                              ;   in Loop: Header=BB1_71 Depth=4
	v_readfirstlane_b32 s0, v105
	v_mov_b64_e32 v[28:29], 0
	s_nop 0
	v_cmp_eq_u32_e64 s[0:1], s0, v105
	s_and_saveexec_b64 s[12:13], s[0:1]
	s_cbranch_execz .LBB1_133
; %bb.128:                              ;   in Loop: Header=BB1_71 Depth=4
	global_load_dwordx2 v[24:25], v47, s[4:5] offset:24 sc0 sc1
	s_waitcnt vmcnt(0)
	buffer_inv sc0 sc1
	global_load_dwordx2 v[22:23], v47, s[4:5] offset:40
	global_load_dwordx2 v[28:29], v47, s[4:5]
	s_waitcnt vmcnt(1)
	v_and_b32_e32 v3, v22, v24
	v_and_b32_e32 v5, v23, v25
	v_mul_lo_u32 v5, v5, 24
	v_mul_hi_u32 v22, v3, 24
	v_add_u32_e32 v23, v22, v5
	v_mul_lo_u32 v22, v3, 24
	s_waitcnt vmcnt(0)
	v_lshl_add_u64 v[22:23], v[28:29], 0, v[22:23]
	global_load_dwordx2 v[22:23], v[22:23], off sc0 sc1
	s_waitcnt vmcnt(0)
	global_atomic_cmpswap_x2 v[28:29], v47, v[22:25], s[4:5] offset:24 sc0 sc1
	s_waitcnt vmcnt(0)
	buffer_inv sc0 sc1
	v_cmp_ne_u64_e32 vcc, v[28:29], v[24:25]
	s_and_saveexec_b64 s[14:15], vcc
	s_cbranch_execz .LBB1_132
; %bb.129:                              ;   in Loop: Header=BB1_71 Depth=4
	s_mov_b64 s[16:17], 0
.LBB1_130:                              ;   Parent Loop BB1_13 Depth=1
                                        ;     Parent Loop BB1_27 Depth=2
                                        ;       Parent Loop BB1_41 Depth=3
                                        ;         Parent Loop BB1_71 Depth=4
                                        ; =>        This Inner Loop Header: Depth=5
	s_sleep 1
	global_load_dwordx2 v[22:23], v47, s[4:5] offset:40
	global_load_dwordx2 v[30:31], v47, s[4:5]
	v_mov_b64_e32 v[24:25], v[28:29]
	s_waitcnt vmcnt(1)
	v_and_b32_e32 v5, v22, v24
	v_and_b32_e32 v3, v23, v25
	s_waitcnt vmcnt(0)
	v_mad_u64_u32 v[22:23], s[18:19], v5, 24, v[30:31]
	v_mov_b32_e32 v28, v23
	v_mad_u64_u32 v[28:29], s[18:19], v3, 24, v[28:29]
	v_mov_b32_e32 v23, v28
	global_load_dwordx2 v[22:23], v[22:23], off sc0 sc1
	s_waitcnt vmcnt(0)
	global_atomic_cmpswap_x2 v[28:29], v47, v[22:25], s[4:5] offset:24 sc0 sc1
	s_waitcnt vmcnt(0)
	buffer_inv sc0 sc1
	v_cmp_eq_u64_e32 vcc, v[28:29], v[24:25]
	s_or_b64 s[16:17], vcc, s[16:17]
	s_andn2_b64 exec, exec, s[16:17]
	s_cbranch_execnz .LBB1_130
; %bb.131:                              ;   in Loop: Header=BB1_71 Depth=4
	s_or_b64 exec, exec, s[16:17]
.LBB1_132:                              ;   in Loop: Header=BB1_71 Depth=4
	s_or_b64 exec, exec, s[14:15]
.LBB1_133:                              ;   in Loop: Header=BB1_71 Depth=4
	s_or_b64 exec, exec, s[12:13]
	global_load_dwordx2 v[30:31], v47, s[4:5] offset:40
	global_load_dwordx4 v[22:25], v47, s[4:5]
	v_readfirstlane_b32 s13, v29
	v_readfirstlane_b32 s12, v28
	s_mov_b64 s[14:15], exec
	s_waitcnt vmcnt(1)
	v_readfirstlane_b32 s16, v30
	v_readfirstlane_b32 s17, v31
	s_and_b64 s[16:17], s[16:17], s[12:13]
	s_mul_i32 s18, s17, 24
	s_mul_hi_u32 s19, s16, 24
	s_add_i32 s19, s19, s18
	s_mul_i32 s18, s16, 24
	s_waitcnt vmcnt(0)
	v_lshl_add_u64 v[28:29], v[22:23], 0, s[18:19]
	s_and_saveexec_b64 s[18:19], s[0:1]
	s_cbranch_execz .LBB1_135
; %bb.134:                              ;   in Loop: Header=BB1_71 Depth=4
	v_mov_b64_e32 v[56:57], s[14:15]
	global_store_dwordx4 v[28:29], v[56:59], off offset:8
.LBB1_135:                              ;   in Loop: Header=BB1_71 Depth=4
	s_or_b64 exec, exec, s[18:19]
	s_lshl_b64 s[14:15], s[16:17], 12
	v_lshl_add_u64 v[24:25], v[24:25], 0, s[14:15]
	v_cmp_gt_u64_e64 s[14:15], s[8:9], 56
	s_and_b64 s[14:15], s[14:15], exec
	s_cselect_b32 s14, 0, 2
	s_lshl_b32 s15, s10, 2
	s_add_i32 s15, s15, 28
	v_and_b32_e32 v3, 0xffffff1f, v6
	s_and_b32 s15, s15, 0x1e0
	v_or_b32_e32 v3, s14, v3
	v_or_b32_e32 v6, s15, v3
	v_readfirstlane_b32 s14, v24
	v_readfirstlane_b32 s15, v25
	s_nop 4
	global_store_dwordx4 v26, v[6:9], s[14:15]
	global_store_dwordx4 v26, v[10:13], s[14:15] offset:16
	global_store_dwordx4 v26, v[14:17], s[14:15] offset:32
	;; [unrolled: 1-line block ×3, first 2 shown]
	s_and_saveexec_b64 s[14:15], s[0:1]
	s_cbranch_execz .LBB1_143
; %bb.136:                              ;   in Loop: Header=BB1_71 Depth=4
	global_load_dwordx2 v[14:15], v47, s[4:5] offset:32 sc0 sc1
	global_load_dwordx2 v[6:7], v47, s[4:5] offset:40
	v_mov_b32_e32 v12, s12
	v_mov_b32_e32 v13, s13
	s_waitcnt vmcnt(0)
	v_readfirstlane_b32 s16, v6
	v_readfirstlane_b32 s17, v7
	s_and_b64 s[16:17], s[16:17], s[12:13]
	s_mul_i32 s17, s17, 24
	s_mul_hi_u32 s18, s16, 24
	s_mul_i32 s16, s16, 24
	s_add_i32 s17, s18, s17
	v_lshl_add_u64 v[10:11], v[22:23], 0, s[16:17]
	global_store_dwordx2 v[10:11], v[14:15], off
	buffer_wbl2 sc0 sc1
	s_waitcnt vmcnt(0)
	global_atomic_cmpswap_x2 v[8:9], v47, v[12:15], s[4:5] offset:32 sc0 sc1
	s_waitcnt vmcnt(0)
	v_cmp_ne_u64_e32 vcc, v[8:9], v[14:15]
	s_and_saveexec_b64 s[16:17], vcc
	s_cbranch_execz .LBB1_139
; %bb.137:                              ;   in Loop: Header=BB1_71 Depth=4
	s_mov_b64 s[18:19], 0
.LBB1_138:                              ;   Parent Loop BB1_13 Depth=1
                                        ;     Parent Loop BB1_27 Depth=2
                                        ;       Parent Loop BB1_41 Depth=3
                                        ;         Parent Loop BB1_71 Depth=4
                                        ; =>        This Inner Loop Header: Depth=5
	s_sleep 1
	global_store_dwordx2 v[10:11], v[8:9], off
	v_mov_b32_e32 v6, s12
	v_mov_b32_e32 v7, s13
	buffer_wbl2 sc0 sc1
	s_waitcnt vmcnt(0)
	global_atomic_cmpswap_x2 v[6:7], v47, v[6:9], s[4:5] offset:32 sc0 sc1
	s_waitcnt vmcnt(0)
	v_cmp_eq_u64_e32 vcc, v[6:7], v[8:9]
	s_or_b64 s[18:19], vcc, s[18:19]
	v_mov_b64_e32 v[8:9], v[6:7]
	s_andn2_b64 exec, exec, s[18:19]
	s_cbranch_execnz .LBB1_138
.LBB1_139:                              ;   in Loop: Header=BB1_71 Depth=4
	s_or_b64 exec, exec, s[16:17]
	global_load_dwordx2 v[6:7], v47, s[4:5] offset:16
	s_mov_b64 s[18:19], exec
	v_mbcnt_lo_u32_b32 v3, s18, 0
	v_mbcnt_hi_u32_b32 v3, s19, v3
	v_cmp_eq_u32_e32 vcc, 0, v3
	s_and_saveexec_b64 s[16:17], vcc
	s_cbranch_execz .LBB1_141
; %bb.140:                              ;   in Loop: Header=BB1_71 Depth=4
	s_bcnt1_i32_b64 s18, s[18:19]
	v_mov_b32_e32 v46, s18
	buffer_wbl2 sc0 sc1
	s_waitcnt vmcnt(0)
	global_atomic_add_x2 v[6:7], v[46:47], off offset:8 sc1
.LBB1_141:                              ;   in Loop: Header=BB1_71 Depth=4
	s_or_b64 exec, exec, s[16:17]
	s_waitcnt vmcnt(0)
	global_load_dwordx2 v[8:9], v[6:7], off offset:16
	s_waitcnt vmcnt(0)
	v_cmp_eq_u64_e32 vcc, 0, v[8:9]
	s_cbranch_vccnz .LBB1_143
; %bb.142:                              ;   in Loop: Header=BB1_71 Depth=4
	global_load_dword v46, v[6:7], off offset:24
	s_waitcnt vmcnt(0)
	v_readfirstlane_b32 s16, v46
	s_and_b32 m0, s16, 0xffffff
	buffer_wbl2 sc0 sc1
	global_store_dwordx2 v[8:9], v[46:47], off sc0 sc1
	s_sendmsg sendmsg(MSG_INTERRUPT)
.LBB1_143:                              ;   in Loop: Header=BB1_71 Depth=4
	s_or_b64 exec, exec, s[14:15]
	v_mov_b32_e32 v27, v47
	v_lshl_add_u64 v[6:7], v[24:25], 0, v[26:27]
	s_branch .LBB1_147
.LBB1_144:                              ;   in Loop: Header=BB1_147 Depth=5
	s_or_b64 exec, exec, s[14:15]
	v_readfirstlane_b32 s14, v3
	s_cmp_eq_u32 s14, 0
	s_cbranch_scc1 .LBB1_146
; %bb.145:                              ;   in Loop: Header=BB1_147 Depth=5
	s_sleep 1
	s_cbranch_execnz .LBB1_147
	s_branch .LBB1_149
.LBB1_146:                              ;   in Loop: Header=BB1_71 Depth=4
	s_branch .LBB1_149
.LBB1_147:                              ;   Parent Loop BB1_13 Depth=1
                                        ;     Parent Loop BB1_27 Depth=2
                                        ;       Parent Loop BB1_41 Depth=3
                                        ;         Parent Loop BB1_71 Depth=4
                                        ; =>        This Inner Loop Header: Depth=5
	v_mov_b32_e32 v3, 1
	s_and_saveexec_b64 s[14:15], s[0:1]
	s_cbranch_execz .LBB1_144
; %bb.148:                              ;   in Loop: Header=BB1_147 Depth=5
	global_load_dword v3, v[28:29], off offset:20 sc0 sc1
	s_waitcnt vmcnt(0)
	buffer_inv sc0 sc1
	v_and_b32_e32 v3, 1, v3
	s_branch .LBB1_144
.LBB1_149:                              ;   in Loop: Header=BB1_71 Depth=4
	global_load_dwordx4 v[6:9], v[6:7], off
	s_and_saveexec_b64 s[14:15], s[0:1]
	s_cbranch_execz .LBB1_70
; %bb.150:                              ;   in Loop: Header=BB1_71 Depth=4
	global_load_dwordx2 v[8:9], v47, s[4:5] offset:40
	global_load_dwordx2 v[16:17], v47, s[4:5] offset:24 sc0 sc1
	global_load_dwordx2 v[10:11], v47, s[4:5]
	s_waitcnt vmcnt(2)
	v_readfirstlane_b32 s16, v8
	v_readfirstlane_b32 s17, v9
	s_add_u32 s18, s16, 1
	s_addc_u32 s19, s17, 0
	s_add_u32 s0, s18, s12
	s_addc_u32 s1, s19, s13
	s_cmp_eq_u64 s[0:1], 0
	s_cselect_b32 s1, s19, s1
	s_cselect_b32 s0, s18, s0
	s_and_b64 s[12:13], s[0:1], s[16:17]
	s_mul_i32 s13, s13, 24
	s_mul_hi_u32 s16, s12, 24
	s_mul_i32 s12, s12, 24
	s_add_i32 s13, s16, s13
	s_waitcnt vmcnt(0)
	v_lshl_add_u64 v[12:13], v[10:11], 0, s[12:13]
	v_mov_b32_e32 v14, s0
	global_store_dwordx2 v[12:13], v[16:17], off
	v_mov_b32_e32 v15, s1
	buffer_wbl2 sc0 sc1
	s_waitcnt vmcnt(0)
	global_atomic_cmpswap_x2 v[10:11], v47, v[14:17], s[4:5] offset:24 sc0 sc1
	s_waitcnt vmcnt(0)
	v_cmp_ne_u64_e32 vcc, v[10:11], v[16:17]
	s_and_b64 exec, exec, vcc
	s_cbranch_execz .LBB1_70
; %bb.151:                              ;   in Loop: Header=BB1_71 Depth=4
	s_mov_b64 s[12:13], 0
.LBB1_152:                              ;   Parent Loop BB1_13 Depth=1
                                        ;     Parent Loop BB1_27 Depth=2
                                        ;       Parent Loop BB1_41 Depth=3
                                        ;         Parent Loop BB1_71 Depth=4
                                        ; =>        This Inner Loop Header: Depth=5
	s_sleep 1
	global_store_dwordx2 v[12:13], v[10:11], off
	v_mov_b32_e32 v8, s0
	v_mov_b32_e32 v9, s1
	buffer_wbl2 sc0 sc1
	s_waitcnt vmcnt(0)
	global_atomic_cmpswap_x2 v[8:9], v47, v[8:11], s[4:5] offset:24 sc0 sc1
	s_waitcnt vmcnt(0)
	v_cmp_eq_u64_e32 vcc, v[8:9], v[10:11]
	s_or_b64 s[12:13], vcc, s[12:13]
	v_mov_b64_e32 v[10:11], v[8:9]
	s_andn2_b64 exec, exec, s[12:13]
	s_cbranch_execnz .LBB1_152
	s_branch .LBB1_70
.LBB1_153:                              ;   in Loop: Header=BB1_41 Depth=3
	s_branch .LBB1_181
.LBB1_154:                              ;   in Loop: Header=BB1_41 Depth=3
	s_cbranch_execz .LBB1_181
; %bb.155:                              ;   in Loop: Header=BB1_41 Depth=3
	v_readfirstlane_b32 s0, v105
	v_mov_b64_e32 v[10:11], 0
	s_nop 0
	v_cmp_eq_u32_e64 s[0:1], s0, v105
	s_and_saveexec_b64 s[6:7], s[0:1]
	s_cbranch_execz .LBB1_161
; %bb.156:                              ;   in Loop: Header=BB1_41 Depth=3
	global_load_dwordx2 v[8:9], v47, s[4:5] offset:24 sc0 sc1
	s_waitcnt vmcnt(0)
	buffer_inv sc0 sc1
	global_load_dwordx2 v[6:7], v47, s[4:5] offset:40
	global_load_dwordx2 v[10:11], v47, s[4:5]
	s_waitcnt vmcnt(1)
	v_and_b32_e32 v3, v6, v8
	v_and_b32_e32 v5, v7, v9
	v_mul_lo_u32 v5, v5, 24
	v_mul_hi_u32 v6, v3, 24
	v_add_u32_e32 v7, v6, v5
	v_mul_lo_u32 v6, v3, 24
	s_waitcnt vmcnt(0)
	v_lshl_add_u64 v[6:7], v[10:11], 0, v[6:7]
	global_load_dwordx2 v[6:7], v[6:7], off sc0 sc1
	s_waitcnt vmcnt(0)
	global_atomic_cmpswap_x2 v[10:11], v47, v[6:9], s[4:5] offset:24 sc0 sc1
	s_waitcnt vmcnt(0)
	buffer_inv sc0 sc1
	v_cmp_ne_u64_e32 vcc, v[10:11], v[8:9]
	s_and_saveexec_b64 s[8:9], vcc
	s_cbranch_execz .LBB1_160
; %bb.157:                              ;   in Loop: Header=BB1_41 Depth=3
	s_mov_b64 s[10:11], 0
.LBB1_158:                              ;   Parent Loop BB1_13 Depth=1
                                        ;     Parent Loop BB1_27 Depth=2
                                        ;       Parent Loop BB1_41 Depth=3
                                        ; =>      This Inner Loop Header: Depth=4
	s_sleep 1
	global_load_dwordx2 v[6:7], v47, s[4:5] offset:40
	global_load_dwordx2 v[12:13], v47, s[4:5]
	v_mov_b64_e32 v[8:9], v[10:11]
	s_waitcnt vmcnt(1)
	v_and_b32_e32 v5, v6, v8
	v_and_b32_e32 v3, v7, v9
	s_waitcnt vmcnt(0)
	v_mad_u64_u32 v[6:7], s[12:13], v5, 24, v[12:13]
	v_mov_b32_e32 v10, v7
	v_mad_u64_u32 v[10:11], s[12:13], v3, 24, v[10:11]
	v_mov_b32_e32 v7, v10
	global_load_dwordx2 v[6:7], v[6:7], off sc0 sc1
	s_waitcnt vmcnt(0)
	global_atomic_cmpswap_x2 v[10:11], v47, v[6:9], s[4:5] offset:24 sc0 sc1
	s_waitcnt vmcnt(0)
	buffer_inv sc0 sc1
	v_cmp_eq_u64_e32 vcc, v[10:11], v[8:9]
	s_or_b64 s[10:11], vcc, s[10:11]
	s_andn2_b64 exec, exec, s[10:11]
	s_cbranch_execnz .LBB1_158
; %bb.159:                              ;   in Loop: Header=BB1_41 Depth=3
	s_or_b64 exec, exec, s[10:11]
.LBB1_160:                              ;   in Loop: Header=BB1_41 Depth=3
	s_or_b64 exec, exec, s[8:9]
.LBB1_161:                              ;   in Loop: Header=BB1_41 Depth=3
	s_or_b64 exec, exec, s[6:7]
	global_load_dwordx2 v[12:13], v47, s[4:5] offset:40
	global_load_dwordx4 v[6:9], v47, s[4:5]
	v_readfirstlane_b32 s7, v11
	v_readfirstlane_b32 s6, v10
	s_mov_b64 s[8:9], exec
	s_waitcnt vmcnt(1)
	v_readfirstlane_b32 s10, v12
	v_readfirstlane_b32 s11, v13
	s_and_b64 s[10:11], s[10:11], s[6:7]
	s_mul_i32 s12, s11, 24
	s_mul_hi_u32 s13, s10, 24
	s_add_i32 s13, s13, s12
	s_mul_i32 s12, s10, 24
	s_waitcnt vmcnt(0)
	v_lshl_add_u64 v[10:11], v[6:7], 0, s[12:13]
	s_and_saveexec_b64 s[12:13], s[0:1]
	s_cbranch_execz .LBB1_163
; %bb.162:                              ;   in Loop: Header=BB1_41 Depth=3
	v_mov_b64_e32 v[56:57], s[8:9]
	global_store_dwordx4 v[10:11], v[56:59], off offset:8
.LBB1_163:                              ;   in Loop: Header=BB1_41 Depth=3
	s_or_b64 exec, exec, s[12:13]
	s_lshl_b64 s[8:9], s[10:11], 12
	s_mov_b32 s57, s56
	v_lshl_add_u64 v[8:9], v[8:9], 0, s[8:9]
	s_mov_b32 s58, s56
	s_mov_b32 s59, s56
	v_mov_b64_e32 v[12:13], s[56:57]
	v_and_or_b32 v44, v44, s90, 34
	v_mov_b32_e32 v46, v47
	v_readfirstlane_b32 s8, v8
	v_readfirstlane_b32 s9, v9
	v_mov_b64_e32 v[14:15], s[58:59]
	s_nop 3
	global_store_dwordx4 v26, v[44:47], s[8:9]
	global_store_dwordx4 v26, v[12:15], s[8:9] offset:16
	global_store_dwordx4 v26, v[12:15], s[8:9] offset:32
	global_store_dwordx4 v26, v[12:15], s[8:9] offset:48
	s_and_saveexec_b64 s[8:9], s[0:1]
	s_cbranch_execz .LBB1_171
; %bb.164:                              ;   in Loop: Header=BB1_41 Depth=3
	global_load_dwordx2 v[16:17], v47, s[4:5] offset:32 sc0 sc1
	global_load_dwordx2 v[8:9], v47, s[4:5] offset:40
	v_mov_b32_e32 v14, s6
	v_mov_b32_e32 v15, s7
	s_waitcnt vmcnt(0)
	v_readfirstlane_b32 s10, v8
	v_readfirstlane_b32 s11, v9
	s_and_b64 s[10:11], s[10:11], s[6:7]
	s_mul_i32 s11, s11, 24
	s_mul_hi_u32 s12, s10, 24
	s_mul_i32 s10, s10, 24
	s_add_i32 s11, s12, s11
	v_lshl_add_u64 v[12:13], v[6:7], 0, s[10:11]
	global_store_dwordx2 v[12:13], v[16:17], off
	buffer_wbl2 sc0 sc1
	s_waitcnt vmcnt(0)
	global_atomic_cmpswap_x2 v[8:9], v47, v[14:17], s[4:5] offset:32 sc0 sc1
	s_waitcnt vmcnt(0)
	v_cmp_ne_u64_e32 vcc, v[8:9], v[16:17]
	s_and_saveexec_b64 s[10:11], vcc
	s_cbranch_execz .LBB1_167
; %bb.165:                              ;   in Loop: Header=BB1_41 Depth=3
	s_mov_b64 s[12:13], 0
.LBB1_166:                              ;   Parent Loop BB1_13 Depth=1
                                        ;     Parent Loop BB1_27 Depth=2
                                        ;       Parent Loop BB1_41 Depth=3
                                        ; =>      This Inner Loop Header: Depth=4
	s_sleep 1
	global_store_dwordx2 v[12:13], v[8:9], off
	v_mov_b32_e32 v6, s6
	v_mov_b32_e32 v7, s7
	buffer_wbl2 sc0 sc1
	s_waitcnt vmcnt(0)
	global_atomic_cmpswap_x2 v[6:7], v47, v[6:9], s[4:5] offset:32 sc0 sc1
	s_waitcnt vmcnt(0)
	v_cmp_eq_u64_e32 vcc, v[6:7], v[8:9]
	s_or_b64 s[12:13], vcc, s[12:13]
	v_mov_b64_e32 v[8:9], v[6:7]
	s_andn2_b64 exec, exec, s[12:13]
	s_cbranch_execnz .LBB1_166
.LBB1_167:                              ;   in Loop: Header=BB1_41 Depth=3
	s_or_b64 exec, exec, s[10:11]
	global_load_dwordx2 v[6:7], v47, s[4:5] offset:16
	s_mov_b64 s[12:13], exec
	v_mbcnt_lo_u32_b32 v3, s12, 0
	v_mbcnt_hi_u32_b32 v3, s13, v3
	v_cmp_eq_u32_e32 vcc, 0, v3
	s_and_saveexec_b64 s[10:11], vcc
	s_cbranch_execz .LBB1_169
; %bb.168:                              ;   in Loop: Header=BB1_41 Depth=3
	s_bcnt1_i32_b64 s12, s[12:13]
	v_mov_b32_e32 v46, s12
	buffer_wbl2 sc0 sc1
	s_waitcnt vmcnt(0)
	global_atomic_add_x2 v[6:7], v[46:47], off offset:8 sc1
.LBB1_169:                              ;   in Loop: Header=BB1_41 Depth=3
	s_or_b64 exec, exec, s[10:11]
	s_waitcnt vmcnt(0)
	global_load_dwordx2 v[8:9], v[6:7], off offset:16
	s_waitcnt vmcnt(0)
	v_cmp_eq_u64_e32 vcc, 0, v[8:9]
	s_cbranch_vccnz .LBB1_171
; %bb.170:                              ;   in Loop: Header=BB1_41 Depth=3
	global_load_dword v46, v[6:7], off offset:24
	s_waitcnt vmcnt(0)
	v_readfirstlane_b32 s10, v46
	s_and_b32 m0, s10, 0xffffff
	buffer_wbl2 sc0 sc1
	global_store_dwordx2 v[8:9], v[46:47], off sc0 sc1
	s_sendmsg sendmsg(MSG_INTERRUPT)
.LBB1_171:                              ;   in Loop: Header=BB1_41 Depth=3
	s_or_b64 exec, exec, s[8:9]
	s_branch .LBB1_175
.LBB1_172:                              ;   in Loop: Header=BB1_175 Depth=4
	s_or_b64 exec, exec, s[8:9]
	v_readfirstlane_b32 s8, v3
	s_cmp_eq_u32 s8, 0
	s_cbranch_scc1 .LBB1_174
; %bb.173:                              ;   in Loop: Header=BB1_175 Depth=4
	s_sleep 1
	s_cbranch_execnz .LBB1_175
	s_branch .LBB1_177
.LBB1_174:                              ;   in Loop: Header=BB1_41 Depth=3
	s_branch .LBB1_177
.LBB1_175:                              ;   Parent Loop BB1_13 Depth=1
                                        ;     Parent Loop BB1_27 Depth=2
                                        ;       Parent Loop BB1_41 Depth=3
                                        ; =>      This Inner Loop Header: Depth=4
	v_mov_b32_e32 v3, 1
	s_and_saveexec_b64 s[8:9], s[0:1]
	s_cbranch_execz .LBB1_172
; %bb.176:                              ;   in Loop: Header=BB1_175 Depth=4
	global_load_dword v3, v[10:11], off offset:20 sc0 sc1
	s_waitcnt vmcnt(0)
	buffer_inv sc0 sc1
	v_and_b32_e32 v3, 1, v3
	s_branch .LBB1_172
.LBB1_177:                              ;   in Loop: Header=BB1_41 Depth=3
	s_and_b64 exec, exec, s[0:1]
	s_cbranch_execz .LBB1_181
; %bb.178:                              ;   in Loop: Header=BB1_41 Depth=3
	global_load_dwordx2 v[6:7], v47, s[4:5] offset:40
	global_load_dwordx2 v[14:15], v47, s[4:5] offset:24 sc0 sc1
	global_load_dwordx2 v[8:9], v47, s[4:5]
	s_waitcnt vmcnt(2)
	v_readfirstlane_b32 s8, v6
	v_readfirstlane_b32 s9, v7
	s_add_u32 s10, s8, 1
	s_addc_u32 s11, s9, 0
	s_add_u32 s0, s10, s6
	s_addc_u32 s1, s11, s7
	s_cmp_eq_u64 s[0:1], 0
	s_cselect_b32 s1, s11, s1
	s_cselect_b32 s0, s10, s0
	s_and_b64 s[6:7], s[0:1], s[8:9]
	s_mul_i32 s7, s7, 24
	s_mul_hi_u32 s8, s6, 24
	s_mul_i32 s6, s6, 24
	s_add_i32 s7, s8, s7
	s_waitcnt vmcnt(0)
	v_lshl_add_u64 v[10:11], v[8:9], 0, s[6:7]
	v_mov_b32_e32 v12, s0
	global_store_dwordx2 v[10:11], v[14:15], off
	v_mov_b32_e32 v13, s1
	buffer_wbl2 sc0 sc1
	s_waitcnt vmcnt(0)
	global_atomic_cmpswap_x2 v[8:9], v47, v[12:15], s[4:5] offset:24 sc0 sc1
	s_waitcnt vmcnt(0)
	v_cmp_ne_u64_e32 vcc, v[8:9], v[14:15]
	s_and_b64 exec, exec, vcc
	s_cbranch_execz .LBB1_181
; %bb.179:                              ;   in Loop: Header=BB1_41 Depth=3
	s_mov_b64 s[6:7], 0
.LBB1_180:                              ;   Parent Loop BB1_13 Depth=1
                                        ;     Parent Loop BB1_27 Depth=2
                                        ;       Parent Loop BB1_41 Depth=3
                                        ; =>      This Inner Loop Header: Depth=4
	s_sleep 1
	global_store_dwordx2 v[10:11], v[8:9], off
	v_mov_b32_e32 v6, s0
	v_mov_b32_e32 v7, s1
	buffer_wbl2 sc0 sc1
	s_waitcnt vmcnt(0)
	global_atomic_cmpswap_x2 v[6:7], v47, v[6:9], s[4:5] offset:24 sc0 sc1
	s_waitcnt vmcnt(0)
	v_cmp_eq_u64_e32 vcc, v[6:7], v[8:9]
	s_or_b64 s[6:7], vcc, s[6:7]
	v_mov_b64_e32 v[8:9], v[6:7]
	s_andn2_b64 exec, exec, s[6:7]
	s_cbranch_execnz .LBB1_180
.LBB1_181:                              ;   in Loop: Header=BB1_41 Depth=3
	s_or_b64 exec, exec, s[2:3]
	v_mov_b32_e32 v3, v47
	s_waitcnt vmcnt(0)
	v_lshl_add_u64 v[6:7], v[96:97], 0, v[2:3]
	global_load_ubyte v5, v[6:7], off
	s_waitcnt vmcnt(0)
	v_cmp_ne_u16_e32 vcc, s91, v5
	s_and_saveexec_b64 s[0:1], vcc
	s_cbranch_execz .LBB1_40
; %bb.182:                              ;   in Loop: Header=BB1_41 Depth=3
	v_lshl_add_u64 v[2:3], v[98:99], 0, v[2:3]
	global_load_sbyte v2, v[2:3], off
	s_waitcnt vmcnt(0)
	v_subrev_u32_e32 v6, s33, v2
	v_cmp_lt_i32_e32 vcc, 9, v6
	s_and_saveexec_b64 s[2:3], vcc
	s_cbranch_execz .LBB1_187
; %bb.183:                              ;   in Loop: Header=BB1_41 Depth=3
	v_cmp_lt_i16_e32 vcc, s92, v5
	s_mov_b64 s[4:5], 0
                                        ; implicit-def: $vgpr2_vgpr3
	s_and_saveexec_b64 s[6:7], vcc
	s_xor_b64 s[6:7], exec, s[6:7]
	s_cbranch_execnz .LBB1_191
; %bb.184:                              ;   in Loop: Header=BB1_41 Depth=3
	s_andn2_saveexec_b64 s[6:7], s[6:7]
	s_cbranch_execnz .LBB1_200
.LBB1_185:                              ;   in Loop: Header=BB1_41 Depth=3
	s_or_b64 exec, exec, s[6:7]
	s_and_b64 exec, exec, s[4:5]
	s_cbranch_execz .LBB1_187
.LBB1_186:                              ;   in Loop: Header=BB1_41 Depth=3
	flat_atomic_add v[2:3], v59
.LBB1_187:                              ;   in Loop: Header=BB1_41 Depth=3
	s_or_b64 exec, exec, s[2:3]
	v_cmp_lt_i32_e32 vcc, 19, v6
	s_and_b64 exec, exec, vcc
	s_cbranch_execz .LBB1_40
; %bb.188:                              ;   in Loop: Header=BB1_41 Depth=3
	v_cmp_lt_i16_e32 vcc, s92, v5
	s_mov_b64 s[2:3], 0
                                        ; implicit-def: $vgpr2_vgpr3
	s_and_saveexec_b64 s[4:5], vcc
	s_xor_b64 s[4:5], exec, s[4:5]
	s_cbranch_execnz .LBB1_207
; %bb.189:                              ;   in Loop: Header=BB1_41 Depth=3
	s_andn2_saveexec_b64 s[4:5], s[4:5]
	s_cbranch_execnz .LBB1_216
.LBB1_190:                              ;   in Loop: Header=BB1_41 Depth=3
	s_or_b64 exec, exec, s[4:5]
	s_and_b64 exec, exec, s[2:3]
	s_cbranch_execz .LBB1_40
	s_branch .LBB1_223
.LBB1_191:                              ;   in Loop: Header=BB1_41 Depth=3
	v_cmp_lt_i16_e32 vcc, s93, v5
                                        ; implicit-def: $vgpr2_vgpr3
	s_and_saveexec_b64 s[8:9], vcc
	s_xor_b64 s[8:9], exec, s[8:9]
	s_cbranch_execz .LBB1_195
; %bb.192:                              ;   in Loop: Header=BB1_41 Depth=3
	v_cmp_eq_u16_e32 vcc, s94, v5
                                        ; implicit-def: $vgpr2_vgpr3
	s_and_saveexec_b64 s[10:11], vcc
; %bb.193:                              ;   in Loop: Header=BB1_41 Depth=3
	s_mov_b64 s[4:5], exec
	v_lshl_add_u64 v[2:3], v[0:1], 0, 44
; %bb.194:                              ;   in Loop: Header=BB1_41 Depth=3
	s_or_b64 exec, exec, s[10:11]
	s_and_b64 s[4:5], s[4:5], exec
.LBB1_195:                              ;   in Loop: Header=BB1_41 Depth=3
	s_andn2_saveexec_b64 s[8:9], s[8:9]
	s_cbranch_execz .LBB1_199
; %bb.196:                              ;   in Loop: Header=BB1_41 Depth=3
	v_cmp_eq_u16_e32 vcc, s95, v5
	s_mov_b64 s[10:11], s[4:5]
                                        ; implicit-def: $vgpr2_vgpr3
	s_and_saveexec_b64 s[12:13], vcc
; %bb.197:                              ;   in Loop: Header=BB1_41 Depth=3
	v_lshl_add_u64 v[2:3], v[0:1], 0, 40
	s_or_b64 s[10:11], s[4:5], exec
; %bb.198:                              ;   in Loop: Header=BB1_41 Depth=3
	s_or_b64 exec, exec, s[12:13]
	s_andn2_b64 s[4:5], s[4:5], exec
	s_and_b64 s[10:11], s[10:11], exec
	s_or_b64 s[4:5], s[4:5], s[10:11]
.LBB1_199:                              ;   in Loop: Header=BB1_41 Depth=3
	s_or_b64 exec, exec, s[8:9]
	s_and_b64 s[4:5], s[4:5], exec
	s_andn2_saveexec_b64 s[6:7], s[6:7]
	s_cbranch_execz .LBB1_185
.LBB1_200:                              ;   in Loop: Header=BB1_41 Depth=3
	v_cmp_lt_i16_e32 vcc, s96, v5
	s_mov_b64 s[8:9], s[4:5]
                                        ; implicit-def: $vgpr2_vgpr3
	s_and_saveexec_b64 s[10:11], vcc
	s_xor_b64 s[10:11], exec, s[10:11]
	s_cbranch_execz .LBB1_204
; %bb.201:                              ;   in Loop: Header=BB1_41 Depth=3
	v_cmp_eq_u16_e32 vcc, s97, v5
	s_mov_b64 s[8:9], s[4:5]
                                        ; implicit-def: $vgpr2_vgpr3
	s_and_saveexec_b64 s[12:13], vcc
; %bb.202:                              ;   in Loop: Header=BB1_41 Depth=3
	v_lshl_add_u64 v[2:3], v[0:1], 0, 36
	s_or_b64 s[8:9], s[4:5], exec
; %bb.203:                              ;   in Loop: Header=BB1_41 Depth=3
	s_or_b64 exec, exec, s[12:13]
	s_andn2_b64 s[12:13], s[4:5], exec
	s_and_b64 s[8:9], s[8:9], exec
	s_or_b64 s[8:9], s[12:13], s[8:9]
.LBB1_204:                              ;   in Loop: Header=BB1_41 Depth=3
	s_andn2_saveexec_b64 s[10:11], s[10:11]
; %bb.205:                              ;   in Loop: Header=BB1_41 Depth=3
	v_cmp_eq_u16_e32 vcc, s98, v5
	s_andn2_b64 s[8:9], s[8:9], exec
	s_and_b64 s[12:13], vcc, exec
	v_lshl_add_u64 v[2:3], v[0:1], 0, 32
	s_or_b64 s[8:9], s[8:9], s[12:13]
; %bb.206:                              ;   in Loop: Header=BB1_41 Depth=3
	s_or_b64 exec, exec, s[10:11]
	s_andn2_b64 s[4:5], s[4:5], exec
	s_and_b64 s[8:9], s[8:9], exec
	s_or_b64 s[4:5], s[4:5], s[8:9]
	s_or_b64 exec, exec, s[6:7]
	s_and_b64 exec, exec, s[4:5]
	s_cbranch_execnz .LBB1_186
	s_branch .LBB1_187
.LBB1_207:                              ;   in Loop: Header=BB1_41 Depth=3
	v_cmp_lt_i16_e32 vcc, s93, v5
                                        ; implicit-def: $vgpr2_vgpr3
	s_and_saveexec_b64 s[6:7], vcc
	s_xor_b64 s[6:7], exec, s[6:7]
	s_cbranch_execz .LBB1_211
; %bb.208:                              ;   in Loop: Header=BB1_41 Depth=3
	v_cmp_eq_u16_e32 vcc, s94, v5
                                        ; implicit-def: $vgpr2_vgpr3
	s_and_saveexec_b64 s[8:9], vcc
; %bb.209:                              ;   in Loop: Header=BB1_41 Depth=3
	s_mov_b64 s[2:3], exec
	v_lshl_add_u64 v[2:3], v[0:1], 0, 28
; %bb.210:                              ;   in Loop: Header=BB1_41 Depth=3
	s_or_b64 exec, exec, s[8:9]
	s_and_b64 s[2:3], s[2:3], exec
                                        ; implicit-def: $vgpr5
                                        ; implicit-def: $vgpr0_vgpr1
.LBB1_211:                              ;   in Loop: Header=BB1_41 Depth=3
	s_andn2_saveexec_b64 s[6:7], s[6:7]
	s_cbranch_execz .LBB1_215
; %bb.212:                              ;   in Loop: Header=BB1_41 Depth=3
	v_cmp_eq_u16_e32 vcc, s95, v5
	s_mov_b64 s[8:9], s[2:3]
                                        ; implicit-def: $vgpr2_vgpr3
	s_and_saveexec_b64 s[10:11], vcc
; %bb.213:                              ;   in Loop: Header=BB1_41 Depth=3
	v_lshl_add_u64 v[2:3], v[0:1], 0, 24
	s_or_b64 s[8:9], s[2:3], exec
; %bb.214:                              ;   in Loop: Header=BB1_41 Depth=3
	s_or_b64 exec, exec, s[10:11]
	s_andn2_b64 s[2:3], s[2:3], exec
	s_and_b64 s[8:9], s[8:9], exec
	s_or_b64 s[2:3], s[2:3], s[8:9]
.LBB1_215:                              ;   in Loop: Header=BB1_41 Depth=3
	s_or_b64 exec, exec, s[6:7]
	s_and_b64 s[2:3], s[2:3], exec
                                        ; implicit-def: $vgpr0_vgpr1
                                        ; implicit-def: $vgpr5
	s_andn2_saveexec_b64 s[4:5], s[4:5]
	s_cbranch_execz .LBB1_190
.LBB1_216:                              ;   in Loop: Header=BB1_41 Depth=3
	v_cmp_lt_i16_e32 vcc, s96, v5
	s_mov_b64 s[6:7], s[2:3]
                                        ; implicit-def: $vgpr2_vgpr3
	s_and_saveexec_b64 s[8:9], vcc
	s_xor_b64 s[8:9], exec, s[8:9]
	s_cbranch_execz .LBB1_220
; %bb.217:                              ;   in Loop: Header=BB1_41 Depth=3
	v_cmp_eq_u16_e32 vcc, s97, v5
	s_mov_b64 s[6:7], s[2:3]
                                        ; implicit-def: $vgpr2_vgpr3
	s_and_saveexec_b64 s[10:11], vcc
; %bb.218:                              ;   in Loop: Header=BB1_41 Depth=3
	v_lshl_add_u64 v[2:3], v[0:1], 0, 20
	s_or_b64 s[6:7], s[2:3], exec
; %bb.219:                              ;   in Loop: Header=BB1_41 Depth=3
	s_or_b64 exec, exec, s[10:11]
	s_andn2_b64 s[10:11], s[2:3], exec
	s_and_b64 s[6:7], s[6:7], exec
	s_or_b64 s[6:7], s[10:11], s[6:7]
                                        ; implicit-def: $vgpr0_vgpr1
                                        ; implicit-def: $vgpr5
.LBB1_220:                              ;   in Loop: Header=BB1_41 Depth=3
	s_andn2_saveexec_b64 s[8:9], s[8:9]
; %bb.221:                              ;   in Loop: Header=BB1_41 Depth=3
	v_cmp_eq_u16_e32 vcc, s98, v5
	s_andn2_b64 s[6:7], s[6:7], exec
	s_and_b64 s[10:11], vcc, exec
	v_lshl_add_u64 v[2:3], v[0:1], 0, 16
	s_or_b64 s[6:7], s[6:7], s[10:11]
; %bb.222:                              ;   in Loop: Header=BB1_41 Depth=3
	s_or_b64 exec, exec, s[8:9]
	s_andn2_b64 s[2:3], s[2:3], exec
	s_and_b64 s[6:7], s[6:7], exec
	s_or_b64 s[2:3], s[2:3], s[6:7]
	s_or_b64 exec, exec, s[4:5]
	s_and_b64 exec, exec, s[2:3]
	s_cbranch_execz .LBB1_40
.LBB1_223:                              ;   in Loop: Header=BB1_41 Depth=3
	flat_atomic_add v[2:3], v59
	s_branch .LBB1_40
.LBB1_224:                              ;   in Loop: Header=BB1_13 Depth=1
	s_or_b64 exec, exec, s[78:79]
; %bb.225:                              ;   in Loop: Header=BB1_13 Depth=1
	s_and_saveexec_b64 s[6:7], s[38:39]
	s_cbranch_execz .LBB1_579
; %bb.226:                              ;   in Loop: Header=BB1_13 Depth=1
	s_mov_b64 s[8:9], 0
	v_mov_b32_e32 v5, v78
	s_branch .LBB1_228
.LBB1_227:                              ;   in Loop: Header=BB1_228 Depth=2
	s_or_b64 exec, exec, s[10:11]
	v_add_u32_e32 v5, 32, v5
	v_cmp_ge_u32_e32 vcc, v5, v42
	s_or_b64 s[8:9], vcc, s[8:9]
	s_andn2_b64 exec, exec, s[8:9]
	s_cbranch_execz .LBB1_579
.LBB1_228:                              ;   Parent Loop BB1_13 Depth=1
                                        ; =>  This Loop Header: Depth=2
                                        ;       Child Loop BB1_337 Depth 3
                                        ;       Child Loop BB1_345 Depth 3
	;; [unrolled: 1-line block ×9, first 2 shown]
                                        ;         Child Loop BB1_438 Depth 4
                                        ;         Child Loop BB1_446 Depth 4
	;; [unrolled: 1-line block ×11, first 2 shown]
	v_mad_u64_u32 v[22:23], s[0:1], v5, 56, v[40:41]
	global_load_dword v0, v[22:23], off offset:8
	s_waitcnt vmcnt(0)
	v_cmp_ne_u32_e32 vcc, -1, v0
	s_and_saveexec_b64 s[10:11], vcc
	s_cbranch_execz .LBB1_227
; %bb.229:                              ;   in Loop: Header=BB1_228 Depth=2
	global_load_dwordx4 v[0:3], v[22:23], off offset:32
	global_load_dwordx4 v[6:9], v[22:23], off offset:16
	s_nop 0
	scratch_store_byte off, v106, off
	scratch_store_byte off, v107, off offset:16
	scratch_store_byte off, v108, off offset:32
	;; [unrolled: 1-line block ×3, first 2 shown]
	s_waitcnt vmcnt(0)
	v_mov_b32_e32 v13, v0
	v_mov_b32_e32 v12, v6
	;; [unrolled: 1-line block ×10, first 2 shown]
	v_cmp_lt_u32_e32 vcc, 1, v0
	scratch_store_dwordx2 off, v[12:13], off offset:4
	scratch_store_dwordx2 off, v[14:15], off offset:20
	;; [unrolled: 1-line block ×4, first 2 shown]
	v_mov_b32_e32 v10, v0
	s_and_saveexec_b64 s[2:3], vcc
	s_cbranch_execz .LBB1_243
; %bb.230:                              ;   in Loop: Header=BB1_228 Depth=2
	v_cvt_f64_u32_e32 v[14:15], v0
	v_cmp_ngt_f64_e32 vcc, v[82:83], v[14:15]
	v_mov_b32_e32 v10, 2
	s_and_saveexec_b64 s[4:5], vcc
	s_cbranch_execz .LBB1_242
; %bb.231:                              ;   in Loop: Header=BB1_228 Depth=2
	v_cmp_ngt_f64_e32 vcc, v[84:85], v[14:15]
	v_cmp_nle_f64_e64 s[0:1], v[82:83], v[14:15]
	v_cvt_f64_u32_e32 v[12:13], v6
	s_or_b64 s[0:1], vcc, s[0:1]
	v_cmp_ngt_f64_e32 vcc, v[82:83], v[12:13]
	s_or_b64 s[14:15], s[0:1], vcc
	v_mov_b32_e32 v10, 3
	s_and_saveexec_b64 s[12:13], s[14:15]
	s_cbranch_execz .LBB1_241
; %bb.232:                              ;   in Loop: Header=BB1_228 Depth=2
	v_cmp_nle_f64_e32 vcc, v[82:83], v[12:13]
	s_or_b64 s[0:1], s[0:1], vcc
	v_mov_b32_e32 v10, 4
	s_and_saveexec_b64 s[14:15], s[0:1]
	s_cbranch_execz .LBB1_240
; %bb.233:                              ;   in Loop: Header=BB1_228 Depth=2
	v_cmp_nle_f64_e64 s[18:19], v[84:85], v[14:15]
	v_cmp_ngt_f64_e64 s[0:1], v[82:83], v[12:13]
	v_cmp_le_f64_e32 vcc, v[84:85], v[14:15]
	s_or_b64 s[0:1], s[18:19], s[0:1]
	v_mov_b32_e32 v10, 5
	s_and_saveexec_b64 s[16:17], s[0:1]
	s_cbranch_execz .LBB1_239
; %bb.234:                              ;   in Loop: Header=BB1_228 Depth=2
	s_and_saveexec_b64 s[20:21], vcc
; %bb.235:                              ;   in Loop: Header=BB1_228 Depth=2
	v_cmp_nlt_f64_e32 vcc, v[82:83], v[12:13]
	v_cmp_ngt_f64_e64 s[0:1], v[84:85], v[12:13]
	s_or_b64 s[0:1], vcc, s[0:1]
	s_andn2_b64 s[18:19], s[18:19], exec
	s_and_b64 s[0:1], s[0:1], exec
	s_or_b64 s[18:19], s[18:19], s[0:1]
; %bb.236:                              ;   in Loop: Header=BB1_228 Depth=2
	s_or_b64 exec, exec, s[20:21]
	v_mov_b32_e32 v10, 6
	s_and_saveexec_b64 s[0:1], s[18:19]
; %bb.237:                              ;   in Loop: Header=BB1_228 Depth=2
	v_mov_b32_e32 v10, 7
; %bb.238:                              ;   in Loop: Header=BB1_228 Depth=2
	s_or_b64 exec, exec, s[0:1]
.LBB1_239:                              ;   in Loop: Header=BB1_228 Depth=2
	s_or_b64 exec, exec, s[16:17]
.LBB1_240:                              ;   in Loop: Header=BB1_228 Depth=2
	s_or_b64 exec, exec, s[14:15]
.LBB1_241:                              ;   in Loop: Header=BB1_228 Depth=2
	s_or_b64 exec, exec, s[12:13]
.LBB1_242:                              ;   in Loop: Header=BB1_228 Depth=2
	s_or_b64 exec, exec, s[4:5]
.LBB1_243:                              ;   in Loop: Header=BB1_228 Depth=2
	s_or_b64 exec, exec, s[2:3]
	v_cmp_lt_u32_e32 vcc, 1, v1
	scratch_store_dword off, v10, off offset:12
	s_and_saveexec_b64 s[2:3], vcc
	s_cbranch_execz .LBB1_257
; %bb.244:                              ;   in Loop: Header=BB1_228 Depth=2
	v_cvt_f64_u32_e32 v[14:15], v1
	v_cmp_ngt_f64_e32 vcc, v[82:83], v[14:15]
	v_mov_b32_e32 v17, 2
	s_and_saveexec_b64 s[4:5], vcc
	s_cbranch_execz .LBB1_256
; %bb.245:                              ;   in Loop: Header=BB1_228 Depth=2
	v_cmp_ngt_f64_e32 vcc, v[84:85], v[14:15]
	v_cmp_nle_f64_e64 s[0:1], v[82:83], v[14:15]
	v_cvt_f64_u32_e32 v[12:13], v7
	s_or_b64 s[0:1], vcc, s[0:1]
	v_cmp_ngt_f64_e32 vcc, v[82:83], v[12:13]
	s_or_b64 s[14:15], s[0:1], vcc
	v_mov_b32_e32 v17, 3
	s_and_saveexec_b64 s[12:13], s[14:15]
	s_cbranch_execz .LBB1_255
; %bb.246:                              ;   in Loop: Header=BB1_228 Depth=2
	v_cmp_nle_f64_e32 vcc, v[82:83], v[12:13]
	s_or_b64 s[0:1], s[0:1], vcc
	v_mov_b32_e32 v17, 4
	s_and_saveexec_b64 s[14:15], s[0:1]
	s_cbranch_execz .LBB1_254
; %bb.247:                              ;   in Loop: Header=BB1_228 Depth=2
	v_cmp_nle_f64_e64 s[18:19], v[84:85], v[14:15]
	v_cmp_ngt_f64_e64 s[0:1], v[82:83], v[12:13]
	v_cmp_le_f64_e32 vcc, v[84:85], v[14:15]
	s_or_b64 s[0:1], s[18:19], s[0:1]
	v_mov_b32_e32 v17, 5
	s_and_saveexec_b64 s[16:17], s[0:1]
	s_cbranch_execz .LBB1_253
; %bb.248:                              ;   in Loop: Header=BB1_228 Depth=2
	s_and_saveexec_b64 s[20:21], vcc
; %bb.249:                              ;   in Loop: Header=BB1_228 Depth=2
	v_cmp_nlt_f64_e32 vcc, v[82:83], v[12:13]
	v_cmp_ngt_f64_e64 s[0:1], v[84:85], v[12:13]
	s_or_b64 s[0:1], vcc, s[0:1]
	s_andn2_b64 s[18:19], s[18:19], exec
	s_and_b64 s[0:1], s[0:1], exec
	s_or_b64 s[18:19], s[18:19], s[0:1]
; %bb.250:                              ;   in Loop: Header=BB1_228 Depth=2
	s_or_b64 exec, exec, s[20:21]
	v_mov_b32_e32 v17, 6
	s_and_saveexec_b64 s[0:1], s[18:19]
; %bb.251:                              ;   in Loop: Header=BB1_228 Depth=2
	v_mov_b32_e32 v17, 7
; %bb.252:                              ;   in Loop: Header=BB1_228 Depth=2
	s_or_b64 exec, exec, s[0:1]
.LBB1_253:                              ;   in Loop: Header=BB1_228 Depth=2
	s_or_b64 exec, exec, s[16:17]
.LBB1_254:                              ;   in Loop: Header=BB1_228 Depth=2
	s_or_b64 exec, exec, s[14:15]
.LBB1_255:                              ;   in Loop: Header=BB1_228 Depth=2
	s_or_b64 exec, exec, s[12:13]
.LBB1_256:                              ;   in Loop: Header=BB1_228 Depth=2
	s_or_b64 exec, exec, s[4:5]
.LBB1_257:                              ;   in Loop: Header=BB1_228 Depth=2
	s_or_b64 exec, exec, s[2:3]
	v_cmp_lt_u32_e32 vcc, 1, v2
	scratch_store_dword off, v17, off offset:28
	;; [unrolled: 61-line block ×3, first 2 shown]
	s_and_saveexec_b64 s[2:3], vcc
	s_cbranch_execz .LBB1_285
; %bb.272:                              ;   in Loop: Header=BB1_228 Depth=2
	v_cvt_f64_u32_e32 v[14:15], v3
	v_cmp_ngt_f64_e32 vcc, v[82:83], v[14:15]
	v_mov_b32_e32 v16, 2
	s_and_saveexec_b64 s[4:5], vcc
	s_cbranch_execz .LBB1_284
; %bb.273:                              ;   in Loop: Header=BB1_228 Depth=2
	v_cmp_ngt_f64_e32 vcc, v[84:85], v[14:15]
	v_cmp_nle_f64_e64 s[0:1], v[82:83], v[14:15]
	v_cvt_f64_u32_e32 v[12:13], v9
	s_or_b64 s[0:1], vcc, s[0:1]
	v_cmp_ngt_f64_e32 vcc, v[82:83], v[12:13]
	s_or_b64 s[14:15], s[0:1], vcc
	v_mov_b32_e32 v16, 3
	s_and_saveexec_b64 s[12:13], s[14:15]
	s_cbranch_execz .LBB1_283
; %bb.274:                              ;   in Loop: Header=BB1_228 Depth=2
	v_cmp_nle_f64_e32 vcc, v[82:83], v[12:13]
	s_or_b64 s[0:1], s[0:1], vcc
	v_mov_b32_e32 v16, 4
	s_and_saveexec_b64 s[14:15], s[0:1]
	s_cbranch_execz .LBB1_282
; %bb.275:                              ;   in Loop: Header=BB1_228 Depth=2
	v_cmp_nle_f64_e64 s[18:19], v[84:85], v[14:15]
	v_cmp_ngt_f64_e64 s[0:1], v[82:83], v[12:13]
	v_cmp_le_f64_e32 vcc, v[84:85], v[14:15]
	s_or_b64 s[0:1], s[18:19], s[0:1]
	v_mov_b32_e32 v16, 5
	s_and_saveexec_b64 s[16:17], s[0:1]
	s_cbranch_execz .LBB1_281
; %bb.276:                              ;   in Loop: Header=BB1_228 Depth=2
	s_and_saveexec_b64 s[20:21], vcc
; %bb.277:                              ;   in Loop: Header=BB1_228 Depth=2
	v_cmp_nlt_f64_e32 vcc, v[82:83], v[12:13]
	v_cmp_ngt_f64_e64 s[0:1], v[84:85], v[12:13]
	s_or_b64 s[0:1], vcc, s[0:1]
	s_andn2_b64 s[18:19], s[18:19], exec
	s_and_b64 s[0:1], s[0:1], exec
	s_or_b64 s[18:19], s[18:19], s[0:1]
; %bb.278:                              ;   in Loop: Header=BB1_228 Depth=2
	s_or_b64 exec, exec, s[20:21]
	v_mov_b32_e32 v16, 6
	s_and_saveexec_b64 s[0:1], s[18:19]
; %bb.279:                              ;   in Loop: Header=BB1_228 Depth=2
	v_mov_b32_e32 v16, 7
; %bb.280:                              ;   in Loop: Header=BB1_228 Depth=2
	s_or_b64 exec, exec, s[0:1]
.LBB1_281:                              ;   in Loop: Header=BB1_228 Depth=2
	s_or_b64 exec, exec, s[16:17]
.LBB1_282:                              ;   in Loop: Header=BB1_228 Depth=2
	s_or_b64 exec, exec, s[14:15]
.LBB1_283:                              ;   in Loop: Header=BB1_228 Depth=2
	s_or_b64 exec, exec, s[12:13]
.LBB1_284:                              ;   in Loop: Header=BB1_228 Depth=2
	s_or_b64 exec, exec, s[4:5]
.LBB1_285:                              ;   in Loop: Header=BB1_228 Depth=2
	s_or_b64 exec, exec, s[2:3]
	v_cmp_ne_u32_e32 vcc, v10, v17
	scratch_store_dword off, v16, off offset:60
                                        ; implicit-def: $sgpr0_sgpr1
	s_and_saveexec_b64 s[2:3], vcc
	s_xor_b64 s[2:3], exec, s[2:3]
	s_cbranch_execnz .LBB1_356
; %bb.286:                              ;   in Loop: Header=BB1_228 Depth=2
	s_andn2_saveexec_b64 s[2:3], s[2:3]
	s_cbranch_execnz .LBB1_357
.LBB1_287:                              ;   in Loop: Header=BB1_228 Depth=2
	s_or_b64 exec, exec, s[2:3]
	s_and_saveexec_b64 s[2:3], s[0:1]
	s_cbranch_execz .LBB1_289
.LBB1_288:                              ;   in Loop: Header=BB1_228 Depth=2
	scratch_load_dwordx4 v[12:15], off, s41
	scratch_load_dwordx4 v[18:21], off, off
	s_waitcnt vmcnt(0)
	scratch_store_dwordx4 off, v[12:15], off
	scratch_load_dword v10, off, off offset:12
	ds_write2_b32 v102, v20, v21 offset0:2 offset1:3
	ds_write2_b32 v102, v18, v19 offset1:1
	scratch_store_dwordx4 off, v[18:21], s41
.LBB1_289:                              ;   in Loop: Header=BB1_228 Depth=2
	s_or_b64 exec, exec, s[2:3]
	s_waitcnt vmcnt(0)
	v_cmp_ne_u32_e32 vcc, v10, v11
                                        ; implicit-def: $sgpr0_sgpr1
	s_and_saveexec_b64 s[2:3], vcc
	s_xor_b64 s[2:3], exec, s[2:3]
	s_cbranch_execnz .LBB1_362
; %bb.290:                              ;   in Loop: Header=BB1_228 Depth=2
	s_andn2_saveexec_b64 s[2:3], s[2:3]
	s_cbranch_execnz .LBB1_363
.LBB1_291:                              ;   in Loop: Header=BB1_228 Depth=2
	s_or_b64 exec, exec, s[2:3]
	s_and_saveexec_b64 s[2:3], s[0:1]
	s_cbranch_execz .LBB1_293
.LBB1_292:                              ;   in Loop: Header=BB1_228 Depth=2
	scratch_load_dwordx4 v[10:13], off, s88
	scratch_load_dwordx4 v[18:21], off, off
	s_waitcnt vmcnt(0)
	scratch_store_dwordx4 off, v[10:13], off
	scratch_load_dword v10, off, off offset:12
	ds_write2_b32 v102, v20, v21 offset0:2 offset1:3
	ds_write2_b32 v102, v18, v19 offset1:1
	scratch_store_dwordx4 off, v[18:21], s88
.LBB1_293:                              ;   in Loop: Header=BB1_228 Depth=2
	s_or_b64 exec, exec, s[2:3]
	s_waitcnt vmcnt(0)
	v_cmp_ne_u32_e32 vcc, v10, v16
                                        ; implicit-def: $sgpr0_sgpr1
	s_and_saveexec_b64 s[2:3], vcc
	s_xor_b64 s[2:3], exec, s[2:3]
	s_cbranch_execnz .LBB1_368
; %bb.294:                              ;   in Loop: Header=BB1_228 Depth=2
	s_andn2_saveexec_b64 s[2:3], s[2:3]
	s_cbranch_execnz .LBB1_369
.LBB1_295:                              ;   in Loop: Header=BB1_228 Depth=2
	s_or_b64 exec, exec, s[2:3]
	s_and_saveexec_b64 s[2:3], s[0:1]
	s_cbranch_execz .LBB1_297
.LBB1_296:                              ;   in Loop: Header=BB1_228 Depth=2
	scratch_load_dwordx4 v[0:3], off, s89
	scratch_load_dwordx4 v[6:9], off, off
	s_waitcnt vmcnt(0)
	scratch_store_dwordx4 off, v[0:3], off
	scratch_load_dword v10, off, off offset:12
	ds_write2_b32 v102, v8, v9 offset0:2 offset1:3
	ds_write2_b32 v102, v6, v7 offset1:1
	scratch_store_dwordx4 off, v[6:9], s89
.LBB1_297:                              ;   in Loop: Header=BB1_228 Depth=2
	s_or_b64 exec, exec, s[2:3]
	scratch_load_dword v0, off, off offset:28
                                        ; implicit-def: $sgpr0_sgpr1
	s_waitcnt vmcnt(0)
	v_cmp_ne_u32_e32 vcc, v0, v10
	s_and_saveexec_b64 s[2:3], vcc
	s_xor_b64 s[2:3], exec, s[2:3]
	s_cbranch_execnz .LBB1_374
; %bb.298:                              ;   in Loop: Header=BB1_228 Depth=2
	s_andn2_saveexec_b64 s[2:3], s[2:3]
	s_cbranch_execnz .LBB1_375
.LBB1_299:                              ;   in Loop: Header=BB1_228 Depth=2
	s_or_b64 exec, exec, s[2:3]
	s_and_saveexec_b64 s[2:3], s[0:1]
	s_cbranch_execz .LBB1_301
.LBB1_300:                              ;   in Loop: Header=BB1_228 Depth=2
	scratch_load_dwordx4 v[0:3], off, off
	scratch_load_dwordx4 v[6:9], off, s41
	s_waitcnt vmcnt(0)
	scratch_store_dwordx4 off, v[0:3], s41
	scratch_load_dword v0, off, off offset:28
	ds_write2_b32 v102, v8, v9 offset0:2 offset1:3
	ds_write2_b32 v102, v6, v7 offset1:1
	scratch_store_dwordx4 off, v[6:9], off
.LBB1_301:                              ;   in Loop: Header=BB1_228 Depth=2
	s_or_b64 exec, exec, s[2:3]
	scratch_load_dword v1, off, off offset:44
                                        ; implicit-def: $sgpr0_sgpr1
	s_waitcnt vmcnt(0)
	v_cmp_ne_u32_e32 vcc, v0, v1
	s_and_saveexec_b64 s[2:3], vcc
	s_xor_b64 s[2:3], exec, s[2:3]
	s_cbranch_execnz .LBB1_380
; %bb.302:                              ;   in Loop: Header=BB1_228 Depth=2
	s_andn2_saveexec_b64 s[2:3], s[2:3]
	s_cbranch_execnz .LBB1_381
.LBB1_303:                              ;   in Loop: Header=BB1_228 Depth=2
	s_or_b64 exec, exec, s[2:3]
	s_and_saveexec_b64 s[2:3], s[0:1]
	s_cbranch_execz .LBB1_305
.LBB1_304:                              ;   in Loop: Header=BB1_228 Depth=2
	scratch_load_dwordx4 v[0:3], off, s88
	scratch_load_dwordx4 v[6:9], off, s41
	s_waitcnt vmcnt(0)
	scratch_store_dwordx4 off, v[0:3], s41
	scratch_load_dword v0, off, off offset:28
	ds_write2_b32 v102, v8, v9 offset0:2 offset1:3
	ds_write2_b32 v102, v6, v7 offset1:1
	scratch_store_dwordx4 off, v[6:9], s88
.LBB1_305:                              ;   in Loop: Header=BB1_228 Depth=2
	s_or_b64 exec, exec, s[2:3]
	scratch_load_dword v1, off, off offset:60
                                        ; implicit-def: $sgpr0_sgpr1
	s_waitcnt vmcnt(0)
	v_cmp_ne_u32_e32 vcc, v0, v1
	s_and_saveexec_b64 s[2:3], vcc
	s_xor_b64 s[2:3], exec, s[2:3]
	s_cbranch_execnz .LBB1_386
; %bb.306:                              ;   in Loop: Header=BB1_228 Depth=2
	s_andn2_saveexec_b64 s[2:3], s[2:3]
	s_cbranch_execnz .LBB1_387
.LBB1_307:                              ;   in Loop: Header=BB1_228 Depth=2
	s_or_b64 exec, exec, s[2:3]
	s_and_saveexec_b64 s[2:3], s[0:1]
	s_cbranch_execz .LBB1_309
.LBB1_308:                              ;   in Loop: Header=BB1_228 Depth=2
	scratch_load_dwordx4 v[0:3], off, s41
	scratch_load_dwordx4 v[6:9], off, s89
	s_waitcnt vmcnt(0)
	ds_write2_b32 v102, v2, v3 offset0:2 offset1:3
	ds_write2_b32 v102, v0, v1 offset1:1
	scratch_store_dwordx4 off, v[6:9], s41
	scratch_store_dwordx4 off, v[0:3], s89
.LBB1_309:                              ;   in Loop: Header=BB1_228 Depth=2
	s_or_b64 exec, exec, s[2:3]
	scratch_load_dword v1, off, off offset:44
	scratch_load_dword v0, off, off offset:12
                                        ; implicit-def: $sgpr0_sgpr1
	s_waitcnt vmcnt(0)
	v_cmp_ne_u32_e32 vcc, v1, v0
	s_and_saveexec_b64 s[2:3], vcc
	s_xor_b64 s[2:3], exec, s[2:3]
	s_cbranch_execnz .LBB1_392
; %bb.310:                              ;   in Loop: Header=BB1_228 Depth=2
	s_andn2_saveexec_b64 s[2:3], s[2:3]
	s_cbranch_execnz .LBB1_393
.LBB1_311:                              ;   in Loop: Header=BB1_228 Depth=2
	s_or_b64 exec, exec, s[2:3]
	s_and_saveexec_b64 s[2:3], s[0:1]
	s_cbranch_execz .LBB1_313
.LBB1_312:                              ;   in Loop: Header=BB1_228 Depth=2
	scratch_load_dwordx4 v[0:3], off, off
	scratch_load_dwordx4 v[6:9], off, s88
	s_waitcnt vmcnt(0)
	scratch_store_dwordx4 off, v[0:3], s88
	scratch_load_dword v1, off, off offset:44
	ds_write2_b32 v102, v8, v9 offset0:2 offset1:3
	ds_write2_b32 v102, v6, v7 offset1:1
	scratch_store_dwordx4 off, v[6:9], off
.LBB1_313:                              ;   in Loop: Header=BB1_228 Depth=2
	s_or_b64 exec, exec, s[2:3]
	scratch_load_dword v0, off, off offset:28
                                        ; implicit-def: $sgpr0_sgpr1
	s_waitcnt vmcnt(0)
	v_cmp_ne_u32_e32 vcc, v1, v0
	s_and_saveexec_b64 s[2:3], vcc
	s_xor_b64 s[2:3], exec, s[2:3]
	s_cbranch_execnz .LBB1_398
; %bb.314:                              ;   in Loop: Header=BB1_228 Depth=2
	s_andn2_saveexec_b64 s[2:3], s[2:3]
	s_cbranch_execnz .LBB1_399
.LBB1_315:                              ;   in Loop: Header=BB1_228 Depth=2
	s_or_b64 exec, exec, s[2:3]
	s_and_saveexec_b64 s[2:3], s[0:1]
	s_cbranch_execz .LBB1_317
.LBB1_316:                              ;   in Loop: Header=BB1_228 Depth=2
	scratch_load_dwordx4 v[0:3], off, s41
	scratch_load_dwordx4 v[6:9], off, s88
	s_waitcnt vmcnt(0)
	scratch_store_dwordx4 off, v[0:3], s88
	scratch_load_dword v1, off, off offset:44
	ds_write2_b32 v102, v8, v9 offset0:2 offset1:3
	ds_write2_b32 v102, v6, v7 offset1:1
	scratch_store_dwordx4 off, v[6:9], s41
.LBB1_317:                              ;   in Loop: Header=BB1_228 Depth=2
	s_or_b64 exec, exec, s[2:3]
	scratch_load_dword v0, off, off offset:60
                                        ; implicit-def: $sgpr0_sgpr1
	s_waitcnt vmcnt(0)
	v_cmp_ne_u32_e32 vcc, v1, v0
	s_and_saveexec_b64 s[2:3], vcc
	s_xor_b64 s[2:3], exec, s[2:3]
	s_cbranch_execnz .LBB1_404
; %bb.318:                              ;   in Loop: Header=BB1_228 Depth=2
	s_andn2_saveexec_b64 s[2:3], s[2:3]
	s_cbranch_execnz .LBB1_405
.LBB1_319:                              ;   in Loop: Header=BB1_228 Depth=2
	s_or_b64 exec, exec, s[2:3]
	s_and_saveexec_b64 s[2:3], s[0:1]
	s_cbranch_execz .LBB1_321
.LBB1_320:                              ;   in Loop: Header=BB1_228 Depth=2
	scratch_load_dwordx4 v[6:9], off, s88
	scratch_load_dwordx4 v[10:13], off, s89
	s_waitcnt vmcnt(0)
	scratch_store_dwordx4 off, v[6:9], s89
	scratch_load_dword v0, off, off offset:60
	ds_write2_b32 v102, v8, v9 offset0:2 offset1:3
	ds_write2_b32 v102, v6, v7 offset1:1
	scratch_store_dwordx4 off, v[10:13], s88
.LBB1_321:                              ;   in Loop: Header=BB1_228 Depth=2
	s_or_b64 exec, exec, s[2:3]
	scratch_load_dword v1, off, off offset:12
                                        ; implicit-def: $sgpr0_sgpr1
	s_waitcnt vmcnt(0)
	v_cmp_ne_u32_e32 vcc, v0, v1
	s_and_saveexec_b64 s[2:3], vcc
	s_xor_b64 s[2:3], exec, s[2:3]
	s_cbranch_execnz .LBB1_410
; %bb.322:                              ;   in Loop: Header=BB1_228 Depth=2
	s_andn2_saveexec_b64 s[2:3], s[2:3]
	s_cbranch_execnz .LBB1_411
.LBB1_323:                              ;   in Loop: Header=BB1_228 Depth=2
	s_or_b64 exec, exec, s[2:3]
	s_and_saveexec_b64 s[2:3], s[0:1]
	s_cbranch_execz .LBB1_325
.LBB1_324:                              ;   in Loop: Header=BB1_228 Depth=2
	scratch_load_dwordx4 v[0:3], off, off
	scratch_load_dwordx4 v[6:9], off, s89
	s_waitcnt vmcnt(0)
	scratch_store_dwordx4 off, v[0:3], s89
	scratch_load_dword v0, off, off offset:60
	ds_write2_b32 v102, v8, v9 offset0:2 offset1:3
	ds_write2_b32 v102, v6, v7 offset1:1
	scratch_store_dwordx4 off, v[6:9], off
.LBB1_325:                              ;   in Loop: Header=BB1_228 Depth=2
	s_or_b64 exec, exec, s[2:3]
	scratch_load_dword v1, off, off offset:28
                                        ; implicit-def: $sgpr0_sgpr1
	s_waitcnt vmcnt(0)
	v_cmp_ne_u32_e32 vcc, v0, v1
	s_and_saveexec_b64 s[2:3], vcc
	s_xor_b64 s[2:3], exec, s[2:3]
	s_cbranch_execnz .LBB1_416
; %bb.326:                              ;   in Loop: Header=BB1_228 Depth=2
	s_andn2_saveexec_b64 s[2:3], s[2:3]
	s_cbranch_execnz .LBB1_417
.LBB1_327:                              ;   in Loop: Header=BB1_228 Depth=2
	s_or_b64 exec, exec, s[2:3]
	s_and_saveexec_b64 s[2:3], s[0:1]
	s_cbranch_execz .LBB1_329
.LBB1_328:                              ;   in Loop: Header=BB1_228 Depth=2
	scratch_load_dwordx4 v[0:3], off, s41
	scratch_load_dwordx4 v[6:9], off, s89
	s_waitcnt vmcnt(0)
	scratch_store_dwordx4 off, v[0:3], s89
	scratch_load_dword v0, off, off offset:60
	ds_write2_b32 v102, v8, v9 offset0:2 offset1:3
	ds_write2_b32 v102, v6, v7 offset1:1
	scratch_store_dwordx4 off, v[6:9], s41
.LBB1_329:                              ;   in Loop: Header=BB1_228 Depth=2
	s_or_b64 exec, exec, s[2:3]
	scratch_load_dword v1, off, off offset:44
                                        ; implicit-def: $sgpr0_sgpr1
	s_waitcnt vmcnt(0)
	v_cmp_ne_u32_e32 vcc, v0, v1
	s_and_saveexec_b64 s[2:3], vcc
	s_xor_b64 s[2:3], exec, s[2:3]
	s_cbranch_execnz .LBB1_422
; %bb.330:                              ;   in Loop: Header=BB1_228 Depth=2
	s_andn2_saveexec_b64 s[2:3], s[2:3]
	s_cbranch_execnz .LBB1_423
.LBB1_331:                              ;   in Loop: Header=BB1_228 Depth=2
	s_or_b64 exec, exec, s[2:3]
	s_and_saveexec_b64 s[2:3], s[0:1]
	s_cbranch_execz .LBB1_333
.LBB1_332:                              ;   in Loop: Header=BB1_228 Depth=2
	scratch_load_dwordx4 v[0:3], off, s89
	scratch_load_dwordx4 v[6:9], off, s88
	s_waitcnt vmcnt(0)
	ds_write2_b32 v102, v2, v3 offset0:2 offset1:3
	ds_write2_b32 v102, v0, v1 offset1:1
	scratch_store_dwordx4 off, v[6:9], s89
	scratch_store_dwordx4 off, v[0:3], s88
.LBB1_333:                              ;   in Loop: Header=BB1_228 Depth=2
	s_or_b64 exec, exec, s[2:3]
	scratch_load_dword v29, off, off offset:12
	scratch_load_dword v28, off, off offset:28
	s_waitcnt vmcnt(0)
	v_cmp_lt_i32_e32 vcc, v29, v28
	s_and_saveexec_b64 s[2:3], vcc
	s_cbranch_execz .LBB1_545
; %bb.334:                              ;   in Loop: Header=BB1_228 Depth=2
	s_load_dwordx2 s[4:5], s[60:61], 0x50
	v_readfirstlane_b32 s0, v105
	v_mov_b64_e32 v[6:7], 0
	s_nop 0
	v_cmp_eq_u32_e64 s[0:1], s0, v105
	s_and_saveexec_b64 s[12:13], s[0:1]
	s_cbranch_execz .LBB1_340
; %bb.335:                              ;   in Loop: Header=BB1_228 Depth=2
	s_waitcnt lgkmcnt(0)
	global_load_dwordx2 v[2:3], v47, s[4:5] offset:24 sc0 sc1
	s_waitcnt vmcnt(0)
	buffer_inv sc0 sc1
	global_load_dwordx2 v[0:1], v47, s[4:5] offset:40
	global_load_dwordx2 v[6:7], v47, s[4:5]
	s_waitcnt vmcnt(1)
	v_and_b32_e32 v0, v0, v2
	v_and_b32_e32 v1, v1, v3
	v_mul_lo_u32 v1, v1, 24
	v_mul_hi_u32 v8, v0, 24
	v_add_u32_e32 v1, v8, v1
	v_mul_lo_u32 v0, v0, 24
	s_waitcnt vmcnt(0)
	v_lshl_add_u64 v[0:1], v[6:7], 0, v[0:1]
	global_load_dwordx2 v[0:1], v[0:1], off sc0 sc1
	s_waitcnt vmcnt(0)
	global_atomic_cmpswap_x2 v[6:7], v47, v[0:3], s[4:5] offset:24 sc0 sc1
	s_waitcnt vmcnt(0)
	buffer_inv sc0 sc1
	v_cmp_ne_u64_e32 vcc, v[6:7], v[2:3]
	s_and_saveexec_b64 s[14:15], vcc
	s_cbranch_execz .LBB1_339
; %bb.336:                              ;   in Loop: Header=BB1_228 Depth=2
	s_mov_b64 s[16:17], 0
.LBB1_337:                              ;   Parent Loop BB1_13 Depth=1
                                        ;     Parent Loop BB1_228 Depth=2
                                        ; =>    This Inner Loop Header: Depth=3
	s_sleep 1
	global_load_dwordx2 v[0:1], v47, s[4:5] offset:40
	global_load_dwordx2 v[8:9], v47, s[4:5]
	v_mov_b64_e32 v[2:3], v[6:7]
	s_waitcnt vmcnt(1)
	v_and_b32_e32 v0, v0, v2
	v_and_b32_e32 v7, v1, v3
	s_waitcnt vmcnt(0)
	v_mad_u64_u32 v[0:1], s[18:19], v0, 24, v[8:9]
	v_mov_b32_e32 v6, v1
	v_mad_u64_u32 v[6:7], s[18:19], v7, 24, v[6:7]
	v_mov_b32_e32 v1, v6
	global_load_dwordx2 v[0:1], v[0:1], off sc0 sc1
	s_waitcnt vmcnt(0)
	global_atomic_cmpswap_x2 v[6:7], v47, v[0:3], s[4:5] offset:24 sc0 sc1
	s_waitcnt vmcnt(0)
	buffer_inv sc0 sc1
	v_cmp_eq_u64_e32 vcc, v[6:7], v[2:3]
	s_or_b64 s[16:17], vcc, s[16:17]
	s_andn2_b64 exec, exec, s[16:17]
	s_cbranch_execnz .LBB1_337
; %bb.338:                              ;   in Loop: Header=BB1_228 Depth=2
	s_or_b64 exec, exec, s[16:17]
.LBB1_339:                              ;   in Loop: Header=BB1_228 Depth=2
	s_or_b64 exec, exec, s[14:15]
.LBB1_340:                              ;   in Loop: Header=BB1_228 Depth=2
	s_or_b64 exec, exec, s[12:13]
	s_waitcnt lgkmcnt(0)
	global_load_dwordx2 v[8:9], v47, s[4:5] offset:40
	global_load_dwordx4 v[0:3], v47, s[4:5]
	v_readfirstlane_b32 s13, v7
	v_readfirstlane_b32 s12, v6
	s_mov_b64 s[14:15], exec
	s_waitcnt vmcnt(1)
	v_readfirstlane_b32 s16, v8
	v_readfirstlane_b32 s17, v9
	s_and_b64 s[16:17], s[16:17], s[12:13]
	s_mul_i32 s18, s17, 24
	s_mul_hi_u32 s19, s16, 24
	s_add_i32 s19, s19, s18
	s_mul_i32 s18, s16, 24
	s_waitcnt vmcnt(0)
	v_lshl_add_u64 v[6:7], v[0:1], 0, s[18:19]
	s_and_saveexec_b64 s[18:19], s[0:1]
	s_cbranch_execz .LBB1_342
; %bb.341:                              ;   in Loop: Header=BB1_228 Depth=2
	v_mov_b64_e32 v[56:57], s[14:15]
	global_store_dwordx4 v[6:7], v[56:59], off offset:8
.LBB1_342:                              ;   in Loop: Header=BB1_228 Depth=2
	s_or_b64 exec, exec, s[18:19]
	s_lshl_b64 s[14:15], s[16:17], 12
	s_mov_b32 s57, s56
	v_lshl_add_u64 v[8:9], v[2:3], 0, s[14:15]
	s_mov_b32 s58, s56
	s_mov_b32 s59, s56
	v_mov_b64_e32 v[10:11], s[56:57]
	v_lshlrev_b32_e32 v24, 6, v105
	v_readfirstlane_b32 s14, v8
	v_readfirstlane_b32 s15, v9
	v_mov_b64_e32 v[12:13], s[58:59]
	s_nop 3
	global_store_dwordx4 v24, v[60:63], s[14:15]
	global_store_dwordx4 v24, v[10:13], s[14:15] offset:16
	global_store_dwordx4 v24, v[10:13], s[14:15] offset:32
	;; [unrolled: 1-line block ×3, first 2 shown]
	s_and_saveexec_b64 s[14:15], s[0:1]
	s_cbranch_execz .LBB1_350
; %bb.343:                              ;   in Loop: Header=BB1_228 Depth=2
	global_load_dwordx2 v[14:15], v47, s[4:5] offset:32 sc0 sc1
	global_load_dwordx2 v[2:3], v47, s[4:5] offset:40
	v_mov_b32_e32 v12, s12
	v_mov_b32_e32 v13, s13
	s_waitcnt vmcnt(0)
	v_and_b32_e32 v2, s12, v2
	v_and_b32_e32 v3, s13, v3
	v_mul_lo_u32 v3, v3, 24
	v_mul_hi_u32 v10, v2, 24
	v_mul_lo_u32 v2, v2, 24
	v_add_u32_e32 v3, v10, v3
	v_lshl_add_u64 v[10:11], v[0:1], 0, v[2:3]
	global_store_dwordx2 v[10:11], v[14:15], off
	buffer_wbl2 sc0 sc1
	s_waitcnt vmcnt(0)
	global_atomic_cmpswap_x2 v[2:3], v47, v[12:15], s[4:5] offset:32 sc0 sc1
	s_waitcnt vmcnt(0)
	v_cmp_ne_u64_e32 vcc, v[2:3], v[14:15]
	s_and_saveexec_b64 s[16:17], vcc
	s_cbranch_execz .LBB1_346
; %bb.344:                              ;   in Loop: Header=BB1_228 Depth=2
	s_mov_b64 s[18:19], 0
.LBB1_345:                              ;   Parent Loop BB1_13 Depth=1
                                        ;     Parent Loop BB1_228 Depth=2
                                        ; =>    This Inner Loop Header: Depth=3
	s_sleep 1
	global_store_dwordx2 v[10:11], v[2:3], off
	v_mov_b32_e32 v0, s12
	v_mov_b32_e32 v1, s13
	buffer_wbl2 sc0 sc1
	s_waitcnt vmcnt(0)
	global_atomic_cmpswap_x2 v[0:1], v47, v[0:3], s[4:5] offset:32 sc0 sc1
	s_waitcnt vmcnt(0)
	v_cmp_eq_u64_e32 vcc, v[0:1], v[2:3]
	s_or_b64 s[18:19], vcc, s[18:19]
	v_mov_b64_e32 v[2:3], v[0:1]
	s_andn2_b64 exec, exec, s[18:19]
	s_cbranch_execnz .LBB1_345
.LBB1_346:                              ;   in Loop: Header=BB1_228 Depth=2
	s_or_b64 exec, exec, s[16:17]
	global_load_dwordx2 v[0:1], v47, s[4:5] offset:16
	s_mov_b64 s[18:19], exec
	v_mbcnt_lo_u32_b32 v2, s18, 0
	v_mbcnt_hi_u32_b32 v2, s19, v2
	v_cmp_eq_u32_e32 vcc, 0, v2
	s_and_saveexec_b64 s[16:17], vcc
	s_cbranch_execz .LBB1_348
; %bb.347:                              ;   in Loop: Header=BB1_228 Depth=2
	s_bcnt1_i32_b64 s18, s[18:19]
	v_mov_b32_e32 v46, s18
	buffer_wbl2 sc0 sc1
	s_waitcnt vmcnt(0)
	global_atomic_add_x2 v[0:1], v[46:47], off offset:8 sc1
.LBB1_348:                              ;   in Loop: Header=BB1_228 Depth=2
	s_or_b64 exec, exec, s[16:17]
	s_waitcnt vmcnt(0)
	global_load_dwordx2 v[2:3], v[0:1], off offset:16
	s_waitcnt vmcnt(0)
	v_cmp_eq_u64_e32 vcc, 0, v[2:3]
	s_cbranch_vccnz .LBB1_350
; %bb.349:                              ;   in Loop: Header=BB1_228 Depth=2
	global_load_dword v46, v[0:1], off offset:24
	s_waitcnt vmcnt(0)
	v_readfirstlane_b32 s16, v46
	s_and_b32 m0, s16, 0xffffff
	buffer_wbl2 sc0 sc1
	global_store_dwordx2 v[2:3], v[46:47], off sc0 sc1
	s_sendmsg sendmsg(MSG_INTERRUPT)
.LBB1_350:                              ;   in Loop: Header=BB1_228 Depth=2
	s_or_b64 exec, exec, s[14:15]
	v_mov_b32_e32 v25, v47
	v_lshl_add_u64 v[0:1], v[8:9], 0, v[24:25]
	s_branch .LBB1_354
.LBB1_351:                              ;   in Loop: Header=BB1_354 Depth=3
	s_or_b64 exec, exec, s[14:15]
	v_readfirstlane_b32 s14, v2
	s_cmp_eq_u32 s14, 0
	s_cbranch_scc1 .LBB1_353
; %bb.352:                              ;   in Loop: Header=BB1_354 Depth=3
	s_sleep 1
	s_cbranch_execnz .LBB1_354
	s_branch .LBB1_428
.LBB1_353:                              ;   in Loop: Header=BB1_228 Depth=2
	s_branch .LBB1_428
.LBB1_354:                              ;   Parent Loop BB1_13 Depth=1
                                        ;     Parent Loop BB1_228 Depth=2
                                        ; =>    This Inner Loop Header: Depth=3
	v_mov_b32_e32 v2, 1
	s_and_saveexec_b64 s[14:15], s[0:1]
	s_cbranch_execz .LBB1_351
; %bb.355:                              ;   in Loop: Header=BB1_354 Depth=3
	global_load_dword v2, v[6:7], off offset:20 sc0 sc1
	s_waitcnt vmcnt(0)
	buffer_inv sc0 sc1
	v_and_b32_e32 v2, 1, v2
	s_branch .LBB1_351
.LBB1_356:                              ;   in Loop: Header=BB1_228 Depth=2
	v_cmp_gt_u32_e64 s[0:1], v10, v17
	s_andn2_saveexec_b64 s[2:3], s[2:3]
	s_cbranch_execz .LBB1_287
.LBB1_357:                              ;   in Loop: Header=BB1_228 Depth=2
	v_cmp_ne_u32_e32 vcc, v6, v7
                                        ; implicit-def: $sgpr4_sgpr5
	s_and_saveexec_b64 s[12:13], vcc
	s_xor_b64 s[12:13], exec, s[12:13]
; %bb.358:                              ;   in Loop: Header=BB1_228 Depth=2
	v_cmp_gt_u32_e64 s[4:5], v6, v7
; %bb.359:                              ;   in Loop: Header=BB1_228 Depth=2
	s_andn2_saveexec_b64 s[12:13], s[12:13]
; %bb.360:                              ;   in Loop: Header=BB1_228 Depth=2
	v_cmp_ge_u32_e32 vcc, v0, v1
	s_andn2_b64 s[4:5], s[4:5], exec
	s_and_b64 s[14:15], vcc, exec
	s_or_b64 s[4:5], s[4:5], s[14:15]
; %bb.361:                              ;   in Loop: Header=BB1_228 Depth=2
	s_or_b64 exec, exec, s[12:13]
	s_andn2_b64 s[0:1], s[0:1], exec
	s_and_b64 s[4:5], s[4:5], exec
	s_or_b64 s[0:1], s[0:1], s[4:5]
	s_or_b64 exec, exec, s[2:3]
	s_and_saveexec_b64 s[2:3], s[0:1]
	s_cbranch_execnz .LBB1_288
	s_branch .LBB1_289
.LBB1_362:                              ;   in Loop: Header=BB1_228 Depth=2
	v_cmp_gt_u32_e64 s[0:1], v10, v11
	s_andn2_saveexec_b64 s[2:3], s[2:3]
	s_cbranch_execz .LBB1_291
.LBB1_363:                              ;   in Loop: Header=BB1_228 Depth=2
	scratch_load_dword v0, off, off offset:4
                                        ; implicit-def: $sgpr4_sgpr5
	s_waitcnt vmcnt(0)
	v_cmp_ne_u32_e32 vcc, v0, v8
	s_and_saveexec_b64 s[12:13], vcc
	s_xor_b64 s[12:13], exec, s[12:13]
; %bb.364:                              ;   in Loop: Header=BB1_228 Depth=2
	v_cmp_gt_u32_e64 s[4:5], v0, v8
; %bb.365:                              ;   in Loop: Header=BB1_228 Depth=2
	s_andn2_saveexec_b64 s[12:13], s[12:13]
	s_cbranch_execz .LBB1_367
; %bb.366:                              ;   in Loop: Header=BB1_228 Depth=2
	scratch_load_dword v0, off, off offset:8
	s_andn2_b64 s[4:5], s[4:5], exec
	s_waitcnt vmcnt(0)
	v_cmp_ge_u32_e32 vcc, v0, v2
	s_and_b64 s[14:15], vcc, exec
	s_or_b64 s[4:5], s[4:5], s[14:15]
.LBB1_367:                              ;   in Loop: Header=BB1_228 Depth=2
	s_or_b64 exec, exec, s[12:13]
	s_andn2_b64 s[0:1], s[0:1], exec
	s_and_b64 s[4:5], s[4:5], exec
	s_or_b64 s[0:1], s[0:1], s[4:5]
	s_or_b64 exec, exec, s[2:3]
	s_and_saveexec_b64 s[2:3], s[0:1]
	s_cbranch_execnz .LBB1_292
	s_branch .LBB1_293
.LBB1_368:                              ;   in Loop: Header=BB1_228 Depth=2
	v_cmp_gt_u32_e64 s[0:1], v10, v16
                                        ; implicit-def: $vgpr0_vgpr1_vgpr2_vgpr3
                                        ; implicit-def: $vgpr6_vgpr7_vgpr8_vgpr9
	s_andn2_saveexec_b64 s[2:3], s[2:3]
	s_cbranch_execz .LBB1_295
.LBB1_369:                              ;   in Loop: Header=BB1_228 Depth=2
	scratch_load_dword v0, off, off offset:4
                                        ; implicit-def: $sgpr4_sgpr5
	s_waitcnt vmcnt(0)
	v_cmp_ne_u32_e32 vcc, v0, v9
	s_and_saveexec_b64 s[12:13], vcc
	s_xor_b64 s[12:13], exec, s[12:13]
; %bb.370:                              ;   in Loop: Header=BB1_228 Depth=2
	v_cmp_gt_u32_e64 s[4:5], v0, v9
                                        ; implicit-def: $vgpr0_vgpr1_vgpr2_vgpr3
; %bb.371:                              ;   in Loop: Header=BB1_228 Depth=2
	s_andn2_saveexec_b64 s[12:13], s[12:13]
	s_cbranch_execz .LBB1_373
; %bb.372:                              ;   in Loop: Header=BB1_228 Depth=2
	scratch_load_dword v0, off, off offset:8
	s_andn2_b64 s[4:5], s[4:5], exec
	s_waitcnt vmcnt(0)
	v_cmp_ge_u32_e32 vcc, v0, v3
	s_and_b64 s[14:15], vcc, exec
	s_or_b64 s[4:5], s[4:5], s[14:15]
.LBB1_373:                              ;   in Loop: Header=BB1_228 Depth=2
	s_or_b64 exec, exec, s[12:13]
	s_andn2_b64 s[0:1], s[0:1], exec
	s_and_b64 s[4:5], s[4:5], exec
	s_or_b64 s[0:1], s[0:1], s[4:5]
	s_or_b64 exec, exec, s[2:3]
	s_and_saveexec_b64 s[2:3], s[0:1]
	s_cbranch_execnz .LBB1_296
	s_branch .LBB1_297
.LBB1_374:                              ;   in Loop: Header=BB1_228 Depth=2
	v_cmp_gt_u32_e64 s[0:1], v0, v10
	s_andn2_saveexec_b64 s[2:3], s[2:3]
	s_cbranch_execz .LBB1_299
.LBB1_375:                              ;   in Loop: Header=BB1_228 Depth=2
	scratch_load_dword v1, off, off offset:20
	scratch_load_dword v2, off, off offset:4
                                        ; implicit-def: $sgpr4_sgpr5
	s_waitcnt vmcnt(0)
	v_cmp_ne_u32_e32 vcc, v1, v2
	s_and_saveexec_b64 s[12:13], vcc
	s_xor_b64 s[12:13], exec, s[12:13]
; %bb.376:                              ;   in Loop: Header=BB1_228 Depth=2
	v_cmp_gt_u32_e64 s[4:5], v1, v2
; %bb.377:                              ;   in Loop: Header=BB1_228 Depth=2
	s_andn2_saveexec_b64 s[12:13], s[12:13]
	s_cbranch_execz .LBB1_379
; %bb.378:                              ;   in Loop: Header=BB1_228 Depth=2
	scratch_load_dword v1, off, off offset:8
	scratch_load_dword v2, off, off offset:24
	s_andn2_b64 s[4:5], s[4:5], exec
	s_waitcnt vmcnt(0)
	v_cmp_ge_u32_e32 vcc, v2, v1
	s_and_b64 s[14:15], vcc, exec
	s_or_b64 s[4:5], s[4:5], s[14:15]
.LBB1_379:                              ;   in Loop: Header=BB1_228 Depth=2
	s_or_b64 exec, exec, s[12:13]
	s_andn2_b64 s[0:1], s[0:1], exec
	s_and_b64 s[4:5], s[4:5], exec
	s_or_b64 s[0:1], s[0:1], s[4:5]
	s_or_b64 exec, exec, s[2:3]
	s_and_saveexec_b64 s[2:3], s[0:1]
	s_cbranch_execnz .LBB1_300
	s_branch .LBB1_301
.LBB1_380:                              ;   in Loop: Header=BB1_228 Depth=2
	v_cmp_gt_u32_e64 s[0:1], v0, v1
	s_andn2_saveexec_b64 s[2:3], s[2:3]
	s_cbranch_execz .LBB1_303
.LBB1_381:                              ;   in Loop: Header=BB1_228 Depth=2
	scratch_load_dword v1, off, off offset:20
	scratch_load_dword v2, off, off offset:36
                                        ; implicit-def: $sgpr4_sgpr5
	s_waitcnt vmcnt(0)
	v_cmp_ne_u32_e32 vcc, v1, v2
	s_and_saveexec_b64 s[12:13], vcc
	s_xor_b64 s[12:13], exec, s[12:13]
; %bb.382:                              ;   in Loop: Header=BB1_228 Depth=2
	v_cmp_gt_u32_e64 s[4:5], v1, v2
; %bb.383:                              ;   in Loop: Header=BB1_228 Depth=2
	s_andn2_saveexec_b64 s[12:13], s[12:13]
	s_cbranch_execz .LBB1_385
; %bb.384:                              ;   in Loop: Header=BB1_228 Depth=2
	scratch_load_dword v1, off, off offset:40
	scratch_load_dword v2, off, off offset:24
	s_andn2_b64 s[4:5], s[4:5], exec
	s_waitcnt vmcnt(0)
	v_cmp_ge_u32_e32 vcc, v2, v1
	s_and_b64 s[14:15], vcc, exec
	s_or_b64 s[4:5], s[4:5], s[14:15]
.LBB1_385:                              ;   in Loop: Header=BB1_228 Depth=2
	s_or_b64 exec, exec, s[12:13]
	s_andn2_b64 s[0:1], s[0:1], exec
	s_and_b64 s[4:5], s[4:5], exec
	s_or_b64 s[0:1], s[0:1], s[4:5]
	s_or_b64 exec, exec, s[2:3]
	s_and_saveexec_b64 s[2:3], s[0:1]
	s_cbranch_execnz .LBB1_304
	s_branch .LBB1_305
.LBB1_386:                              ;   in Loop: Header=BB1_228 Depth=2
	v_cmp_gt_u32_e64 s[0:1], v0, v1
	s_andn2_saveexec_b64 s[2:3], s[2:3]
	s_cbranch_execz .LBB1_307
.LBB1_387:                              ;   in Loop: Header=BB1_228 Depth=2
	scratch_load_dword v0, off, off offset:20
	scratch_load_dword v1, off, off offset:52
                                        ; implicit-def: $sgpr4_sgpr5
	s_waitcnt vmcnt(0)
	v_cmp_ne_u32_e32 vcc, v0, v1
	s_and_saveexec_b64 s[12:13], vcc
	s_xor_b64 s[12:13], exec, s[12:13]
; %bb.388:                              ;   in Loop: Header=BB1_228 Depth=2
	v_cmp_gt_u32_e64 s[4:5], v0, v1
; %bb.389:                              ;   in Loop: Header=BB1_228 Depth=2
	s_andn2_saveexec_b64 s[12:13], s[12:13]
	s_cbranch_execz .LBB1_391
; %bb.390:                              ;   in Loop: Header=BB1_228 Depth=2
	scratch_load_dword v0, off, off offset:56
	scratch_load_dword v1, off, off offset:24
	s_andn2_b64 s[4:5], s[4:5], exec
	s_waitcnt vmcnt(0)
	v_cmp_ge_u32_e32 vcc, v1, v0
	s_and_b64 s[14:15], vcc, exec
	s_or_b64 s[4:5], s[4:5], s[14:15]
.LBB1_391:                              ;   in Loop: Header=BB1_228 Depth=2
	s_or_b64 exec, exec, s[12:13]
	s_andn2_b64 s[0:1], s[0:1], exec
	s_and_b64 s[4:5], s[4:5], exec
	s_or_b64 s[0:1], s[0:1], s[4:5]
	s_or_b64 exec, exec, s[2:3]
	s_and_saveexec_b64 s[2:3], s[0:1]
	s_cbranch_execnz .LBB1_308
	s_branch .LBB1_309
.LBB1_392:                              ;   in Loop: Header=BB1_228 Depth=2
	v_cmp_gt_u32_e64 s[0:1], v1, v0
	s_andn2_saveexec_b64 s[2:3], s[2:3]
	s_cbranch_execz .LBB1_311
.LBB1_393:                              ;   in Loop: Header=BB1_228 Depth=2
	scratch_load_dword v0, off, off offset:36
	scratch_load_dword v2, off, off offset:4
                                        ; implicit-def: $sgpr4_sgpr5
	s_waitcnt vmcnt(0)
	v_cmp_ne_u32_e32 vcc, v0, v2
	s_and_saveexec_b64 s[12:13], vcc
	s_xor_b64 s[12:13], exec, s[12:13]
; %bb.394:                              ;   in Loop: Header=BB1_228 Depth=2
	v_cmp_gt_u32_e64 s[4:5], v0, v2
; %bb.395:                              ;   in Loop: Header=BB1_228 Depth=2
	s_andn2_saveexec_b64 s[12:13], s[12:13]
	s_cbranch_execz .LBB1_397
; %bb.396:                              ;   in Loop: Header=BB1_228 Depth=2
	scratch_load_dword v0, off, off offset:8
	scratch_load_dword v2, off, off offset:40
	s_andn2_b64 s[4:5], s[4:5], exec
	s_waitcnt vmcnt(0)
	v_cmp_ge_u32_e32 vcc, v2, v0
	s_and_b64 s[14:15], vcc, exec
	s_or_b64 s[4:5], s[4:5], s[14:15]
.LBB1_397:                              ;   in Loop: Header=BB1_228 Depth=2
	s_or_b64 exec, exec, s[12:13]
	s_andn2_b64 s[0:1], s[0:1], exec
	s_and_b64 s[4:5], s[4:5], exec
	s_or_b64 s[0:1], s[0:1], s[4:5]
	s_or_b64 exec, exec, s[2:3]
	s_and_saveexec_b64 s[2:3], s[0:1]
	s_cbranch_execnz .LBB1_312
	s_branch .LBB1_313
.LBB1_398:                              ;   in Loop: Header=BB1_228 Depth=2
	v_cmp_gt_u32_e64 s[0:1], v1, v0
	s_andn2_saveexec_b64 s[2:3], s[2:3]
	s_cbranch_execz .LBB1_315
.LBB1_399:                              ;   in Loop: Header=BB1_228 Depth=2
	scratch_load_dword v0, off, off offset:36
	scratch_load_dword v2, off, off offset:20
                                        ; implicit-def: $sgpr4_sgpr5
	s_waitcnt vmcnt(0)
	v_cmp_ne_u32_e32 vcc, v0, v2
	s_and_saveexec_b64 s[12:13], vcc
	s_xor_b64 s[12:13], exec, s[12:13]
; %bb.400:                              ;   in Loop: Header=BB1_228 Depth=2
	v_cmp_gt_u32_e64 s[4:5], v0, v2
; %bb.401:                              ;   in Loop: Header=BB1_228 Depth=2
	s_andn2_saveexec_b64 s[12:13], s[12:13]
	s_cbranch_execz .LBB1_403
; %bb.402:                              ;   in Loop: Header=BB1_228 Depth=2
	scratch_load_dword v0, off, off offset:24
	scratch_load_dword v2, off, off offset:40
	s_andn2_b64 s[4:5], s[4:5], exec
	s_waitcnt vmcnt(0)
	v_cmp_ge_u32_e32 vcc, v2, v0
	s_and_b64 s[14:15], vcc, exec
	s_or_b64 s[4:5], s[4:5], s[14:15]
.LBB1_403:                              ;   in Loop: Header=BB1_228 Depth=2
	s_or_b64 exec, exec, s[12:13]
	s_andn2_b64 s[0:1], s[0:1], exec
	s_and_b64 s[4:5], s[4:5], exec
	s_or_b64 s[0:1], s[0:1], s[4:5]
	s_or_b64 exec, exec, s[2:3]
	s_and_saveexec_b64 s[2:3], s[0:1]
	s_cbranch_execnz .LBB1_316
	s_branch .LBB1_317
.LBB1_404:                              ;   in Loop: Header=BB1_228 Depth=2
	v_cmp_gt_u32_e64 s[0:1], v1, v0
	s_andn2_saveexec_b64 s[2:3], s[2:3]
	s_cbranch_execz .LBB1_319
.LBB1_405:                              ;   in Loop: Header=BB1_228 Depth=2
	scratch_load_dword v1, off, off offset:36
	scratch_load_dword v2, off, off offset:52
                                        ; implicit-def: $sgpr4_sgpr5
	s_waitcnt vmcnt(0)
	v_cmp_ne_u32_e32 vcc, v1, v2
	s_and_saveexec_b64 s[12:13], vcc
	s_xor_b64 s[12:13], exec, s[12:13]
; %bb.406:                              ;   in Loop: Header=BB1_228 Depth=2
	v_cmp_gt_u32_e64 s[4:5], v1, v2
; %bb.407:                              ;   in Loop: Header=BB1_228 Depth=2
	s_andn2_saveexec_b64 s[12:13], s[12:13]
	s_cbranch_execz .LBB1_409
; %bb.408:                              ;   in Loop: Header=BB1_228 Depth=2
	scratch_load_dword v1, off, off offset:56
	scratch_load_dword v2, off, off offset:40
	s_andn2_b64 s[4:5], s[4:5], exec
	s_waitcnt vmcnt(0)
	v_cmp_ge_u32_e32 vcc, v2, v1
	s_and_b64 s[14:15], vcc, exec
	s_or_b64 s[4:5], s[4:5], s[14:15]
.LBB1_409:                              ;   in Loop: Header=BB1_228 Depth=2
	s_or_b64 exec, exec, s[12:13]
	s_andn2_b64 s[0:1], s[0:1], exec
	s_and_b64 s[4:5], s[4:5], exec
	s_or_b64 s[0:1], s[0:1], s[4:5]
	s_or_b64 exec, exec, s[2:3]
	s_and_saveexec_b64 s[2:3], s[0:1]
	s_cbranch_execnz .LBB1_320
	s_branch .LBB1_321
.LBB1_410:                              ;   in Loop: Header=BB1_228 Depth=2
	v_cmp_gt_u32_e64 s[0:1], v0, v1
	s_andn2_saveexec_b64 s[2:3], s[2:3]
	s_cbranch_execz .LBB1_323
.LBB1_411:                              ;   in Loop: Header=BB1_228 Depth=2
	scratch_load_dword v1, off, off offset:52
	scratch_load_dword v2, off, off offset:4
                                        ; implicit-def: $sgpr4_sgpr5
	s_waitcnt vmcnt(0)
	v_cmp_ne_u32_e32 vcc, v1, v2
	s_and_saveexec_b64 s[12:13], vcc
	s_xor_b64 s[12:13], exec, s[12:13]
; %bb.412:                              ;   in Loop: Header=BB1_228 Depth=2
	v_cmp_gt_u32_e64 s[4:5], v1, v2
; %bb.413:                              ;   in Loop: Header=BB1_228 Depth=2
	s_andn2_saveexec_b64 s[12:13], s[12:13]
	s_cbranch_execz .LBB1_415
; %bb.414:                              ;   in Loop: Header=BB1_228 Depth=2
	scratch_load_dword v1, off, off offset:8
	scratch_load_dword v2, off, off offset:56
	s_andn2_b64 s[4:5], s[4:5], exec
	s_waitcnt vmcnt(0)
	v_cmp_ge_u32_e32 vcc, v2, v1
	s_and_b64 s[14:15], vcc, exec
	s_or_b64 s[4:5], s[4:5], s[14:15]
.LBB1_415:                              ;   in Loop: Header=BB1_228 Depth=2
	s_or_b64 exec, exec, s[12:13]
	s_andn2_b64 s[0:1], s[0:1], exec
	s_and_b64 s[4:5], s[4:5], exec
	s_or_b64 s[0:1], s[0:1], s[4:5]
	s_or_b64 exec, exec, s[2:3]
	s_and_saveexec_b64 s[2:3], s[0:1]
	s_cbranch_execnz .LBB1_324
	s_branch .LBB1_325
.LBB1_416:                              ;   in Loop: Header=BB1_228 Depth=2
	v_cmp_gt_u32_e64 s[0:1], v0, v1
	s_andn2_saveexec_b64 s[2:3], s[2:3]
	s_cbranch_execz .LBB1_327
.LBB1_417:                              ;   in Loop: Header=BB1_228 Depth=2
	scratch_load_dword v1, off, off offset:52
	scratch_load_dword v2, off, off offset:20
                                        ; implicit-def: $sgpr4_sgpr5
	s_waitcnt vmcnt(0)
	v_cmp_ne_u32_e32 vcc, v1, v2
	s_and_saveexec_b64 s[12:13], vcc
	s_xor_b64 s[12:13], exec, s[12:13]
; %bb.418:                              ;   in Loop: Header=BB1_228 Depth=2
	v_cmp_gt_u32_e64 s[4:5], v1, v2
; %bb.419:                              ;   in Loop: Header=BB1_228 Depth=2
	s_andn2_saveexec_b64 s[12:13], s[12:13]
	s_cbranch_execz .LBB1_421
; %bb.420:                              ;   in Loop: Header=BB1_228 Depth=2
	scratch_load_dword v1, off, off offset:24
	scratch_load_dword v2, off, off offset:56
	s_andn2_b64 s[4:5], s[4:5], exec
	s_waitcnt vmcnt(0)
	v_cmp_ge_u32_e32 vcc, v2, v1
	s_and_b64 s[14:15], vcc, exec
	s_or_b64 s[4:5], s[4:5], s[14:15]
.LBB1_421:                              ;   in Loop: Header=BB1_228 Depth=2
	s_or_b64 exec, exec, s[12:13]
	s_andn2_b64 s[0:1], s[0:1], exec
	s_and_b64 s[4:5], s[4:5], exec
	s_or_b64 s[0:1], s[0:1], s[4:5]
	s_or_b64 exec, exec, s[2:3]
	s_and_saveexec_b64 s[2:3], s[0:1]
	s_cbranch_execnz .LBB1_328
	s_branch .LBB1_329
.LBB1_422:                              ;   in Loop: Header=BB1_228 Depth=2
	v_cmp_gt_u32_e64 s[0:1], v0, v1
	s_andn2_saveexec_b64 s[2:3], s[2:3]
	s_cbranch_execz .LBB1_331
.LBB1_423:                              ;   in Loop: Header=BB1_228 Depth=2
	scratch_load_dword v0, off, off offset:52
	scratch_load_dword v1, off, off offset:36
                                        ; implicit-def: $sgpr4_sgpr5
	s_waitcnt vmcnt(0)
	v_cmp_ne_u32_e32 vcc, v0, v1
	s_and_saveexec_b64 s[12:13], vcc
	s_xor_b64 s[12:13], exec, s[12:13]
; %bb.424:                              ;   in Loop: Header=BB1_228 Depth=2
	v_cmp_gt_u32_e64 s[4:5], v0, v1
; %bb.425:                              ;   in Loop: Header=BB1_228 Depth=2
	s_andn2_saveexec_b64 s[12:13], s[12:13]
	s_cbranch_execz .LBB1_427
; %bb.426:                              ;   in Loop: Header=BB1_228 Depth=2
	scratch_load_dword v0, off, off offset:40
	scratch_load_dword v1, off, off offset:56
	s_andn2_b64 s[4:5], s[4:5], exec
	s_waitcnt vmcnt(0)
	v_cmp_ge_u32_e32 vcc, v1, v0
	s_and_b64 s[14:15], vcc, exec
	s_or_b64 s[4:5], s[4:5], s[14:15]
.LBB1_427:                              ;   in Loop: Header=BB1_228 Depth=2
	s_or_b64 exec, exec, s[12:13]
	s_andn2_b64 s[0:1], s[0:1], exec
	s_and_b64 s[4:5], s[4:5], exec
	s_or_b64 s[0:1], s[0:1], s[4:5]
	s_or_b64 exec, exec, s[2:3]
	s_and_saveexec_b64 s[2:3], s[0:1]
	s_cbranch_execnz .LBB1_332
	s_branch .LBB1_333
.LBB1_428:                              ;   in Loop: Header=BB1_228 Depth=2
	global_load_dwordx2 v[44:45], v[0:1], off
	s_and_saveexec_b64 s[14:15], s[0:1]
	s_cbranch_execz .LBB1_432
; %bb.429:                              ;   in Loop: Header=BB1_228 Depth=2
	global_load_dwordx2 v[0:1], v47, s[4:5] offset:40
	global_load_dwordx2 v[10:11], v47, s[4:5] offset:24 sc0 sc1
	global_load_dwordx2 v[2:3], v47, s[4:5]
	s_waitcnt vmcnt(2)
	v_readfirstlane_b32 s16, v0
	v_readfirstlane_b32 s17, v1
	s_add_u32 s18, s16, 1
	s_addc_u32 s19, s17, 0
	s_add_u32 s0, s18, s12
	s_addc_u32 s1, s19, s13
	s_cmp_eq_u64 s[0:1], 0
	s_cselect_b32 s1, s19, s1
	s_cselect_b32 s0, s18, s0
	s_and_b64 s[12:13], s[0:1], s[16:17]
	s_mul_i32 s13, s13, 24
	s_mul_hi_u32 s16, s12, 24
	s_mul_i32 s12, s12, 24
	s_add_i32 s13, s16, s13
	s_waitcnt vmcnt(0)
	v_lshl_add_u64 v[6:7], v[2:3], 0, s[12:13]
	v_mov_b32_e32 v8, s0
	global_store_dwordx2 v[6:7], v[10:11], off
	v_mov_b32_e32 v9, s1
	buffer_wbl2 sc0 sc1
	s_waitcnt vmcnt(0)
	global_atomic_cmpswap_x2 v[2:3], v47, v[8:11], s[4:5] offset:24 sc0 sc1
	s_waitcnt vmcnt(0)
	v_cmp_ne_u64_e32 vcc, v[2:3], v[10:11]
	s_and_b64 exec, exec, vcc
	s_cbranch_execz .LBB1_432
; %bb.430:                              ;   in Loop: Header=BB1_228 Depth=2
	s_mov_b64 s[12:13], 0
.LBB1_431:                              ;   Parent Loop BB1_13 Depth=1
                                        ;     Parent Loop BB1_228 Depth=2
                                        ; =>    This Inner Loop Header: Depth=3
	s_sleep 1
	global_store_dwordx2 v[6:7], v[2:3], off
	v_mov_b32_e32 v0, s0
	v_mov_b32_e32 v1, s1
	buffer_wbl2 sc0 sc1
	s_waitcnt vmcnt(0)
	global_atomic_cmpswap_x2 v[0:1], v47, v[0:3], s[4:5] offset:24 sc0 sc1
	s_waitcnt vmcnt(0)
	v_cmp_eq_u64_e32 vcc, v[0:1], v[2:3]
	s_or_b64 s[12:13], vcc, s[12:13]
	v_mov_b64_e32 v[2:3], v[0:1]
	s_andn2_b64 exec, exec, s[12:13]
	s_cbranch_execnz .LBB1_431
.LBB1_432:                              ;   in Loop: Header=BB1_228 Depth=2
	s_or_b64 exec, exec, s[14:15]
	s_and_b64 vcc, exec, s[72:73]
	s_cbranch_vccz .LBB1_518
; %bb.433:                              ;   in Loop: Header=BB1_228 Depth=2
	s_waitcnt vmcnt(0)
	v_and_b32_e32 v0, -3, v44
	v_mov_b32_e32 v1, v45
	s_mov_b64 s[14:15], 53
	s_getpc_b64 s[12:13]
	s_add_u32 s12, s12, .str.4@rel32@lo+4
	s_addc_u32 s13, s13, .str.4@rel32@hi+12
	s_branch .LBB1_435
.LBB1_434:                              ;   in Loop: Header=BB1_435 Depth=3
	s_or_b64 exec, exec, s[20:21]
	s_sub_u32 s14, s14, s16
	s_subb_u32 s15, s15, s17
	s_add_u32 s12, s12, s16
	s_addc_u32 s13, s13, s17
	s_cmp_lg_u64 s[14:15], 0
	s_cbranch_scc0 .LBB1_517
.LBB1_435:                              ;   Parent Loop BB1_13 Depth=1
                                        ;     Parent Loop BB1_228 Depth=2
                                        ; =>    This Loop Header: Depth=3
                                        ;         Child Loop BB1_438 Depth 4
                                        ;         Child Loop BB1_446 Depth 4
	;; [unrolled: 1-line block ×11, first 2 shown]
	v_cmp_lt_u64_e64 s[0:1], s[14:15], 56
	s_and_b64 s[0:1], s[0:1], exec
	s_cselect_b32 s17, s15, 0
	s_cselect_b32 s16, s14, 56
	v_cmp_gt_u64_e64 s[18:19], s[14:15], 7
	s_add_u32 s0, s12, 8
	s_addc_u32 s1, s13, 0
	s_and_b64 vcc, exec, s[18:19]
	s_cbranch_vccnz .LBB1_439
; %bb.436:                              ;   in Loop: Header=BB1_435 Depth=3
	s_cmp_eq_u64 s[14:15], 0
	s_cbranch_scc1 .LBB1_440
; %bb.437:                              ;   in Loop: Header=BB1_435 Depth=3
	s_lshl_b64 s[0:1], s[16:17], 3
	s_mov_b64 s[18:19], 0
	s_waitcnt vmcnt(0)
	v_mov_b64_e32 v[2:3], 0
	s_mov_b64 s[20:21], s[12:13]
.LBB1_438:                              ;   Parent Loop BB1_13 Depth=1
                                        ;     Parent Loop BB1_228 Depth=2
                                        ;       Parent Loop BB1_435 Depth=3
                                        ; =>      This Inner Loop Header: Depth=4
	global_load_ubyte v6, v47, s[20:21]
	s_waitcnt vmcnt(0)
	v_and_b32_e32 v46, 0xffff, v6
	v_lshlrev_b64 v[6:7], s18, v[46:47]
	s_add_u32 s18, s18, 8
	s_addc_u32 s19, s19, 0
	s_add_u32 s20, s20, 1
	s_addc_u32 s21, s21, 0
	v_or_b32_e32 v2, v6, v2
	s_cmp_lg_u32 s0, s18
	v_or_b32_e32 v3, v7, v3
	s_cbranch_scc1 .LBB1_438
	s_branch .LBB1_441
.LBB1_439:                              ;   in Loop: Header=BB1_435 Depth=3
	s_mov_b32 s22, 0
	s_branch .LBB1_442
.LBB1_440:                              ;   in Loop: Header=BB1_435 Depth=3
	s_waitcnt vmcnt(0)
	v_mov_b64_e32 v[2:3], 0
.LBB1_441:                              ;   in Loop: Header=BB1_435 Depth=3
	s_mov_b64 s[0:1], s[12:13]
	s_mov_b32 s22, 0
	s_cbranch_execnz .LBB1_443
.LBB1_442:                              ;   in Loop: Header=BB1_435 Depth=3
	global_load_dwordx2 v[2:3], v47, s[12:13]
	s_add_i32 s22, s16, -8
.LBB1_443:                              ;   in Loop: Header=BB1_435 Depth=3
	s_add_u32 s18, s0, 8
	s_addc_u32 s19, s1, 0
	s_cmp_gt_u32 s22, 7
	s_cbranch_scc1 .LBB1_447
; %bb.444:                              ;   in Loop: Header=BB1_435 Depth=3
	s_cmp_eq_u32 s22, 0
	s_cbranch_scc1 .LBB1_448
; %bb.445:                              ;   in Loop: Header=BB1_435 Depth=3
	s_mov_b64 s[18:19], 0
	v_mov_b64_e32 v[6:7], 0
	s_mov_b64 s[20:21], 0
.LBB1_446:                              ;   Parent Loop BB1_13 Depth=1
                                        ;     Parent Loop BB1_228 Depth=2
                                        ;       Parent Loop BB1_435 Depth=3
                                        ; =>      This Inner Loop Header: Depth=4
	s_add_u32 s24, s0, s20
	s_addc_u32 s25, s1, s21
	global_load_ubyte v8, v47, s[24:25]
	s_add_u32 s20, s20, 1
	s_addc_u32 s21, s21, 0
	s_waitcnt vmcnt(0)
	v_and_b32_e32 v46, 0xffff, v8
	v_lshlrev_b64 v[8:9], s18, v[46:47]
	s_add_u32 s18, s18, 8
	s_addc_u32 s19, s19, 0
	v_or_b32_e32 v6, v8, v6
	s_cmp_lg_u32 s22, s20
	v_or_b32_e32 v7, v9, v7
	s_cbranch_scc1 .LBB1_446
	s_branch .LBB1_449
.LBB1_447:                              ;   in Loop: Header=BB1_435 Depth=3
                                        ; implicit-def: $vgpr6_vgpr7
	s_mov_b32 s23, 0
	s_branch .LBB1_450
.LBB1_448:                              ;   in Loop: Header=BB1_435 Depth=3
	v_mov_b64_e32 v[6:7], 0
.LBB1_449:                              ;   in Loop: Header=BB1_435 Depth=3
	s_mov_b64 s[18:19], s[0:1]
	s_mov_b32 s23, 0
	s_cbranch_execnz .LBB1_451
.LBB1_450:                              ;   in Loop: Header=BB1_435 Depth=3
	global_load_dwordx2 v[6:7], v47, s[0:1]
	s_add_i32 s23, s22, -8
.LBB1_451:                              ;   in Loop: Header=BB1_435 Depth=3
	s_add_u32 s0, s18, 8
	s_addc_u32 s1, s19, 0
	s_cmp_gt_u32 s23, 7
	s_cbranch_scc1 .LBB1_455
; %bb.452:                              ;   in Loop: Header=BB1_435 Depth=3
	s_cmp_eq_u32 s23, 0
	s_cbranch_scc1 .LBB1_456
; %bb.453:                              ;   in Loop: Header=BB1_435 Depth=3
	s_mov_b64 s[0:1], 0
	v_mov_b64_e32 v[8:9], 0
	s_mov_b64 s[20:21], 0
.LBB1_454:                              ;   Parent Loop BB1_13 Depth=1
                                        ;     Parent Loop BB1_228 Depth=2
                                        ;       Parent Loop BB1_435 Depth=3
                                        ; =>      This Inner Loop Header: Depth=4
	s_add_u32 s24, s18, s20
	s_addc_u32 s25, s19, s21
	global_load_ubyte v10, v47, s[24:25]
	s_add_u32 s20, s20, 1
	s_addc_u32 s21, s21, 0
	s_waitcnt vmcnt(0)
	v_and_b32_e32 v46, 0xffff, v10
	v_lshlrev_b64 v[10:11], s0, v[46:47]
	s_add_u32 s0, s0, 8
	s_addc_u32 s1, s1, 0
	v_or_b32_e32 v8, v10, v8
	s_cmp_lg_u32 s23, s20
	v_or_b32_e32 v9, v11, v9
	s_cbranch_scc1 .LBB1_454
	s_branch .LBB1_457
.LBB1_455:                              ;   in Loop: Header=BB1_435 Depth=3
	s_mov_b32 s22, 0
	s_branch .LBB1_458
.LBB1_456:                              ;   in Loop: Header=BB1_435 Depth=3
	v_mov_b64_e32 v[8:9], 0
.LBB1_457:                              ;   in Loop: Header=BB1_435 Depth=3
	s_mov_b64 s[0:1], s[18:19]
	s_mov_b32 s22, 0
	s_cbranch_execnz .LBB1_459
.LBB1_458:                              ;   in Loop: Header=BB1_435 Depth=3
	global_load_dwordx2 v[8:9], v47, s[18:19]
	s_add_i32 s22, s23, -8
.LBB1_459:                              ;   in Loop: Header=BB1_435 Depth=3
	s_add_u32 s18, s0, 8
	s_addc_u32 s19, s1, 0
	s_cmp_gt_u32 s22, 7
	s_cbranch_scc1 .LBB1_463
; %bb.460:                              ;   in Loop: Header=BB1_435 Depth=3
	s_cmp_eq_u32 s22, 0
	s_cbranch_scc1 .LBB1_464
; %bb.461:                              ;   in Loop: Header=BB1_435 Depth=3
	s_mov_b64 s[18:19], 0
	v_mov_b64_e32 v[10:11], 0
	s_mov_b64 s[20:21], 0
.LBB1_462:                              ;   Parent Loop BB1_13 Depth=1
                                        ;     Parent Loop BB1_228 Depth=2
                                        ;       Parent Loop BB1_435 Depth=3
                                        ; =>      This Inner Loop Header: Depth=4
	s_add_u32 s24, s0, s20
	s_addc_u32 s25, s1, s21
	global_load_ubyte v12, v47, s[24:25]
	s_add_u32 s20, s20, 1
	s_addc_u32 s21, s21, 0
	s_waitcnt vmcnt(0)
	v_and_b32_e32 v46, 0xffff, v12
	v_lshlrev_b64 v[12:13], s18, v[46:47]
	s_add_u32 s18, s18, 8
	s_addc_u32 s19, s19, 0
	v_or_b32_e32 v10, v12, v10
	s_cmp_lg_u32 s22, s20
	v_or_b32_e32 v11, v13, v11
	s_cbranch_scc1 .LBB1_462
	s_branch .LBB1_465
.LBB1_463:                              ;   in Loop: Header=BB1_435 Depth=3
                                        ; implicit-def: $vgpr10_vgpr11
	s_mov_b32 s23, 0
	s_branch .LBB1_466
.LBB1_464:                              ;   in Loop: Header=BB1_435 Depth=3
	v_mov_b64_e32 v[10:11], 0
.LBB1_465:                              ;   in Loop: Header=BB1_435 Depth=3
	s_mov_b64 s[18:19], s[0:1]
	s_mov_b32 s23, 0
	s_cbranch_execnz .LBB1_467
.LBB1_466:                              ;   in Loop: Header=BB1_435 Depth=3
	global_load_dwordx2 v[10:11], v47, s[0:1]
	s_add_i32 s23, s22, -8
.LBB1_467:                              ;   in Loop: Header=BB1_435 Depth=3
	s_add_u32 s0, s18, 8
	s_addc_u32 s1, s19, 0
	s_cmp_gt_u32 s23, 7
	s_cbranch_scc1 .LBB1_471
; %bb.468:                              ;   in Loop: Header=BB1_435 Depth=3
	s_cmp_eq_u32 s23, 0
	s_cbranch_scc1 .LBB1_472
; %bb.469:                              ;   in Loop: Header=BB1_435 Depth=3
	s_mov_b64 s[0:1], 0
	v_mov_b64_e32 v[12:13], 0
	s_mov_b64 s[20:21], 0
.LBB1_470:                              ;   Parent Loop BB1_13 Depth=1
                                        ;     Parent Loop BB1_228 Depth=2
                                        ;       Parent Loop BB1_435 Depth=3
                                        ; =>      This Inner Loop Header: Depth=4
	s_add_u32 s24, s18, s20
	s_addc_u32 s25, s19, s21
	global_load_ubyte v14, v47, s[24:25]
	s_add_u32 s20, s20, 1
	s_addc_u32 s21, s21, 0
	s_waitcnt vmcnt(0)
	v_and_b32_e32 v46, 0xffff, v14
	v_lshlrev_b64 v[14:15], s0, v[46:47]
	s_add_u32 s0, s0, 8
	s_addc_u32 s1, s1, 0
	v_or_b32_e32 v12, v14, v12
	s_cmp_lg_u32 s23, s20
	v_or_b32_e32 v13, v15, v13
	s_cbranch_scc1 .LBB1_470
	s_branch .LBB1_473
.LBB1_471:                              ;   in Loop: Header=BB1_435 Depth=3
	s_mov_b32 s22, 0
	s_branch .LBB1_474
.LBB1_472:                              ;   in Loop: Header=BB1_435 Depth=3
	v_mov_b64_e32 v[12:13], 0
.LBB1_473:                              ;   in Loop: Header=BB1_435 Depth=3
	s_mov_b64 s[0:1], s[18:19]
	s_mov_b32 s22, 0
	s_cbranch_execnz .LBB1_475
.LBB1_474:                              ;   in Loop: Header=BB1_435 Depth=3
	global_load_dwordx2 v[12:13], v47, s[18:19]
	s_add_i32 s22, s23, -8
.LBB1_475:                              ;   in Loop: Header=BB1_435 Depth=3
	s_add_u32 s18, s0, 8
	s_addc_u32 s19, s1, 0
	s_cmp_gt_u32 s22, 7
	s_cbranch_scc1 .LBB1_479
; %bb.476:                              ;   in Loop: Header=BB1_435 Depth=3
	s_cmp_eq_u32 s22, 0
	s_cbranch_scc1 .LBB1_480
; %bb.477:                              ;   in Loop: Header=BB1_435 Depth=3
	s_mov_b64 s[18:19], 0
	v_mov_b64_e32 v[14:15], 0
	s_mov_b64 s[20:21], 0
.LBB1_478:                              ;   Parent Loop BB1_13 Depth=1
                                        ;     Parent Loop BB1_228 Depth=2
                                        ;       Parent Loop BB1_435 Depth=3
                                        ; =>      This Inner Loop Header: Depth=4
	s_add_u32 s24, s0, s20
	s_addc_u32 s25, s1, s21
	global_load_ubyte v16, v47, s[24:25]
	s_add_u32 s20, s20, 1
	s_addc_u32 s21, s21, 0
	s_waitcnt vmcnt(0)
	v_and_b32_e32 v46, 0xffff, v16
	v_lshlrev_b64 v[16:17], s18, v[46:47]
	s_add_u32 s18, s18, 8
	s_addc_u32 s19, s19, 0
	v_or_b32_e32 v14, v16, v14
	s_cmp_lg_u32 s22, s20
	v_or_b32_e32 v15, v17, v15
	s_cbranch_scc1 .LBB1_478
	s_branch .LBB1_481
.LBB1_479:                              ;   in Loop: Header=BB1_435 Depth=3
                                        ; implicit-def: $vgpr14_vgpr15
	s_mov_b32 s23, 0
	s_branch .LBB1_482
.LBB1_480:                              ;   in Loop: Header=BB1_435 Depth=3
	v_mov_b64_e32 v[14:15], 0
.LBB1_481:                              ;   in Loop: Header=BB1_435 Depth=3
	s_mov_b64 s[18:19], s[0:1]
	s_mov_b32 s23, 0
	s_cbranch_execnz .LBB1_483
.LBB1_482:                              ;   in Loop: Header=BB1_435 Depth=3
	global_load_dwordx2 v[14:15], v47, s[0:1]
	s_add_i32 s23, s22, -8
.LBB1_483:                              ;   in Loop: Header=BB1_435 Depth=3
	s_cmp_gt_u32 s23, 7
	s_cbranch_scc1 .LBB1_487
; %bb.484:                              ;   in Loop: Header=BB1_435 Depth=3
	s_cmp_eq_u32 s23, 0
	s_cbranch_scc1 .LBB1_488
; %bb.485:                              ;   in Loop: Header=BB1_435 Depth=3
	s_mov_b64 s[0:1], 0
	v_mov_b64_e32 v[16:17], 0
	s_mov_b64 s[20:21], s[18:19]
.LBB1_486:                              ;   Parent Loop BB1_13 Depth=1
                                        ;     Parent Loop BB1_228 Depth=2
                                        ;       Parent Loop BB1_435 Depth=3
                                        ; =>      This Inner Loop Header: Depth=4
	global_load_ubyte v18, v47, s[20:21]
	s_add_i32 s23, s23, -1
	s_waitcnt vmcnt(0)
	v_and_b32_e32 v46, 0xffff, v18
	v_lshlrev_b64 v[18:19], s0, v[46:47]
	s_add_u32 s0, s0, 8
	s_addc_u32 s1, s1, 0
	s_add_u32 s20, s20, 1
	s_addc_u32 s21, s21, 0
	v_or_b32_e32 v16, v18, v16
	s_cmp_lg_u32 s23, 0
	v_or_b32_e32 v17, v19, v17
	s_cbranch_scc1 .LBB1_486
	s_branch .LBB1_489
.LBB1_487:                              ;   in Loop: Header=BB1_435 Depth=3
	s_branch .LBB1_490
.LBB1_488:                              ;   in Loop: Header=BB1_435 Depth=3
	v_mov_b64_e32 v[16:17], 0
.LBB1_489:                              ;   in Loop: Header=BB1_435 Depth=3
	s_cbranch_execnz .LBB1_491
.LBB1_490:                              ;   in Loop: Header=BB1_435 Depth=3
	global_load_dwordx2 v[16:17], v47, s[18:19]
.LBB1_491:                              ;   in Loop: Header=BB1_435 Depth=3
	v_readfirstlane_b32 s0, v105
	v_mov_b64_e32 v[26:27], 0
	s_nop 0
	v_cmp_eq_u32_e64 s[0:1], s0, v105
	s_and_saveexec_b64 s[18:19], s[0:1]
	s_cbranch_execz .LBB1_497
; %bb.492:                              ;   in Loop: Header=BB1_435 Depth=3
	global_load_dwordx2 v[20:21], v47, s[4:5] offset:24 sc0 sc1
	s_waitcnt vmcnt(0)
	buffer_inv sc0 sc1
	global_load_dwordx2 v[18:19], v47, s[4:5] offset:40
	global_load_dwordx2 v[26:27], v47, s[4:5]
	s_waitcnt vmcnt(1)
	v_and_b32_e32 v18, v18, v20
	v_and_b32_e32 v19, v19, v21
	v_mul_lo_u32 v19, v19, 24
	v_mul_hi_u32 v25, v18, 24
	v_add_u32_e32 v19, v25, v19
	v_mul_lo_u32 v18, v18, 24
	s_waitcnt vmcnt(0)
	v_lshl_add_u64 v[18:19], v[26:27], 0, v[18:19]
	global_load_dwordx2 v[18:19], v[18:19], off sc0 sc1
	s_waitcnt vmcnt(0)
	global_atomic_cmpswap_x2 v[26:27], v47, v[18:21], s[4:5] offset:24 sc0 sc1
	s_waitcnt vmcnt(0)
	buffer_inv sc0 sc1
	v_cmp_ne_u64_e32 vcc, v[26:27], v[20:21]
	s_and_saveexec_b64 s[20:21], vcc
	s_cbranch_execz .LBB1_496
; %bb.493:                              ;   in Loop: Header=BB1_435 Depth=3
	s_mov_b64 s[22:23], 0
.LBB1_494:                              ;   Parent Loop BB1_13 Depth=1
                                        ;     Parent Loop BB1_228 Depth=2
                                        ;       Parent Loop BB1_435 Depth=3
                                        ; =>      This Inner Loop Header: Depth=4
	s_sleep 1
	global_load_dwordx2 v[18:19], v47, s[4:5] offset:40
	global_load_dwordx2 v[30:31], v47, s[4:5]
	v_mov_b64_e32 v[20:21], v[26:27]
	s_waitcnt vmcnt(1)
	v_and_b32_e32 v18, v18, v20
	v_and_b32_e32 v25, v19, v21
	s_waitcnt vmcnt(0)
	v_mad_u64_u32 v[18:19], s[24:25], v18, 24, v[30:31]
	v_mov_b32_e32 v26, v19
	v_mad_u64_u32 v[26:27], s[24:25], v25, 24, v[26:27]
	v_mov_b32_e32 v19, v26
	global_load_dwordx2 v[18:19], v[18:19], off sc0 sc1
	s_waitcnt vmcnt(0)
	global_atomic_cmpswap_x2 v[26:27], v47, v[18:21], s[4:5] offset:24 sc0 sc1
	s_waitcnt vmcnt(0)
	buffer_inv sc0 sc1
	v_cmp_eq_u64_e32 vcc, v[26:27], v[20:21]
	s_or_b64 s[22:23], vcc, s[22:23]
	s_andn2_b64 exec, exec, s[22:23]
	s_cbranch_execnz .LBB1_494
; %bb.495:                              ;   in Loop: Header=BB1_435 Depth=3
	s_or_b64 exec, exec, s[22:23]
.LBB1_496:                              ;   in Loop: Header=BB1_435 Depth=3
	s_or_b64 exec, exec, s[20:21]
.LBB1_497:                              ;   in Loop: Header=BB1_435 Depth=3
	s_or_b64 exec, exec, s[18:19]
	global_load_dwordx2 v[30:31], v47, s[4:5] offset:40
	global_load_dwordx4 v[18:21], v47, s[4:5]
	v_readfirstlane_b32 s19, v27
	v_readfirstlane_b32 s18, v26
	s_mov_b64 s[20:21], exec
	s_waitcnt vmcnt(1)
	v_readfirstlane_b32 s22, v30
	v_readfirstlane_b32 s23, v31
	s_and_b64 s[22:23], s[22:23], s[18:19]
	s_mul_i32 s24, s23, 24
	s_mul_hi_u32 s25, s22, 24
	s_add_i32 s25, s25, s24
	s_mul_i32 s24, s22, 24
	s_waitcnt vmcnt(0)
	v_lshl_add_u64 v[26:27], v[18:19], 0, s[24:25]
	s_and_saveexec_b64 s[24:25], s[0:1]
	s_cbranch_execz .LBB1_499
; %bb.498:                              ;   in Loop: Header=BB1_435 Depth=3
	v_mov_b64_e32 v[56:57], s[20:21]
	global_store_dwordx4 v[26:27], v[56:59], off offset:8
.LBB1_499:                              ;   in Loop: Header=BB1_435 Depth=3
	s_or_b64 exec, exec, s[24:25]
	s_lshl_b64 s[20:21], s[22:23], 12
	v_lshl_add_u64 v[20:21], v[20:21], 0, s[20:21]
	v_cmp_gt_u64_e64 s[20:21], s[14:15], 56
	s_and_b64 s[20:21], s[20:21], exec
	s_cselect_b32 s20, 0, 2
	s_lshl_b32 s21, s16, 2
	s_add_i32 s21, s21, 28
	v_and_b32_e32 v0, 0xffffff1f, v0
	s_and_b32 s21, s21, 0x1e0
	v_or_b32_e32 v0, s20, v0
	v_or_b32_e32 v0, s21, v0
	v_readfirstlane_b32 s20, v20
	v_readfirstlane_b32 s21, v21
	s_nop 4
	global_store_dwordx4 v24, v[0:3], s[20:21]
	global_store_dwordx4 v24, v[6:9], s[20:21] offset:16
	global_store_dwordx4 v24, v[10:13], s[20:21] offset:32
	;; [unrolled: 1-line block ×3, first 2 shown]
	s_and_saveexec_b64 s[20:21], s[0:1]
	s_cbranch_execz .LBB1_507
; %bb.500:                              ;   in Loop: Header=BB1_435 Depth=3
	global_load_dwordx2 v[10:11], v47, s[4:5] offset:32 sc0 sc1
	global_load_dwordx2 v[0:1], v47, s[4:5] offset:40
	v_mov_b32_e32 v8, s18
	v_mov_b32_e32 v9, s19
	s_waitcnt vmcnt(0)
	v_readfirstlane_b32 s22, v0
	v_readfirstlane_b32 s23, v1
	s_and_b64 s[22:23], s[22:23], s[18:19]
	s_mul_i32 s23, s23, 24
	s_mul_hi_u32 s24, s22, 24
	s_mul_i32 s22, s22, 24
	s_add_i32 s23, s24, s23
	v_lshl_add_u64 v[6:7], v[18:19], 0, s[22:23]
	global_store_dwordx2 v[6:7], v[10:11], off
	buffer_wbl2 sc0 sc1
	s_waitcnt vmcnt(0)
	global_atomic_cmpswap_x2 v[2:3], v47, v[8:11], s[4:5] offset:32 sc0 sc1
	s_waitcnt vmcnt(0)
	v_cmp_ne_u64_e32 vcc, v[2:3], v[10:11]
	s_and_saveexec_b64 s[22:23], vcc
	s_cbranch_execz .LBB1_503
; %bb.501:                              ;   in Loop: Header=BB1_435 Depth=3
	s_mov_b64 s[24:25], 0
.LBB1_502:                              ;   Parent Loop BB1_13 Depth=1
                                        ;     Parent Loop BB1_228 Depth=2
                                        ;       Parent Loop BB1_435 Depth=3
                                        ; =>      This Inner Loop Header: Depth=4
	s_sleep 1
	global_store_dwordx2 v[6:7], v[2:3], off
	v_mov_b32_e32 v0, s18
	v_mov_b32_e32 v1, s19
	buffer_wbl2 sc0 sc1
	s_waitcnt vmcnt(0)
	global_atomic_cmpswap_x2 v[0:1], v47, v[0:3], s[4:5] offset:32 sc0 sc1
	s_waitcnt vmcnt(0)
	v_cmp_eq_u64_e32 vcc, v[0:1], v[2:3]
	s_or_b64 s[24:25], vcc, s[24:25]
	v_mov_b64_e32 v[2:3], v[0:1]
	s_andn2_b64 exec, exec, s[24:25]
	s_cbranch_execnz .LBB1_502
.LBB1_503:                              ;   in Loop: Header=BB1_435 Depth=3
	s_or_b64 exec, exec, s[22:23]
	global_load_dwordx2 v[0:1], v47, s[4:5] offset:16
	s_mov_b64 s[24:25], exec
	v_mbcnt_lo_u32_b32 v2, s24, 0
	v_mbcnt_hi_u32_b32 v2, s25, v2
	v_cmp_eq_u32_e32 vcc, 0, v2
	s_and_saveexec_b64 s[22:23], vcc
	s_cbranch_execz .LBB1_505
; %bb.504:                              ;   in Loop: Header=BB1_435 Depth=3
	s_bcnt1_i32_b64 s24, s[24:25]
	v_mov_b32_e32 v46, s24
	buffer_wbl2 sc0 sc1
	s_waitcnt vmcnt(0)
	global_atomic_add_x2 v[0:1], v[46:47], off offset:8 sc1
.LBB1_505:                              ;   in Loop: Header=BB1_435 Depth=3
	s_or_b64 exec, exec, s[22:23]
	s_waitcnt vmcnt(0)
	global_load_dwordx2 v[2:3], v[0:1], off offset:16
	s_waitcnt vmcnt(0)
	v_cmp_eq_u64_e32 vcc, 0, v[2:3]
	s_cbranch_vccnz .LBB1_507
; %bb.506:                              ;   in Loop: Header=BB1_435 Depth=3
	global_load_dword v46, v[0:1], off offset:24
	s_waitcnt vmcnt(0)
	v_readfirstlane_b32 s22, v46
	s_and_b32 m0, s22, 0xffffff
	buffer_wbl2 sc0 sc1
	global_store_dwordx2 v[2:3], v[46:47], off sc0 sc1
	s_sendmsg sendmsg(MSG_INTERRUPT)
.LBB1_507:                              ;   in Loop: Header=BB1_435 Depth=3
	s_or_b64 exec, exec, s[20:21]
	v_mov_b32_e32 v25, v47
	v_lshl_add_u64 v[0:1], v[20:21], 0, v[24:25]
	s_branch .LBB1_511
.LBB1_508:                              ;   in Loop: Header=BB1_511 Depth=4
	s_or_b64 exec, exec, s[20:21]
	v_readfirstlane_b32 s20, v2
	s_cmp_eq_u32 s20, 0
	s_cbranch_scc1 .LBB1_510
; %bb.509:                              ;   in Loop: Header=BB1_511 Depth=4
	s_sleep 1
	s_cbranch_execnz .LBB1_511
	s_branch .LBB1_513
.LBB1_510:                              ;   in Loop: Header=BB1_435 Depth=3
	s_branch .LBB1_513
.LBB1_511:                              ;   Parent Loop BB1_13 Depth=1
                                        ;     Parent Loop BB1_228 Depth=2
                                        ;       Parent Loop BB1_435 Depth=3
                                        ; =>      This Inner Loop Header: Depth=4
	v_mov_b32_e32 v2, 1
	s_and_saveexec_b64 s[20:21], s[0:1]
	s_cbranch_execz .LBB1_508
; %bb.512:                              ;   in Loop: Header=BB1_511 Depth=4
	global_load_dword v2, v[26:27], off offset:20 sc0 sc1
	s_waitcnt vmcnt(0)
	buffer_inv sc0 sc1
	v_and_b32_e32 v2, 1, v2
	s_branch .LBB1_508
.LBB1_513:                              ;   in Loop: Header=BB1_435 Depth=3
	global_load_dwordx4 v[0:3], v[0:1], off
	s_and_saveexec_b64 s[20:21], s[0:1]
	s_cbranch_execz .LBB1_434
; %bb.514:                              ;   in Loop: Header=BB1_435 Depth=3
	global_load_dwordx2 v[2:3], v47, s[4:5] offset:40
	global_load_dwordx2 v[10:11], v47, s[4:5] offset:24 sc0 sc1
	global_load_dwordx2 v[6:7], v47, s[4:5]
	s_waitcnt vmcnt(2)
	v_readfirstlane_b32 s22, v2
	v_readfirstlane_b32 s23, v3
	s_add_u32 s24, s22, 1
	s_addc_u32 s25, s23, 0
	s_add_u32 s0, s24, s18
	s_addc_u32 s1, s25, s19
	s_cmp_eq_u64 s[0:1], 0
	s_cselect_b32 s1, s25, s1
	s_cselect_b32 s0, s24, s0
	s_and_b64 s[18:19], s[0:1], s[22:23]
	s_mul_i32 s19, s19, 24
	s_mul_hi_u32 s22, s18, 24
	s_mul_i32 s18, s18, 24
	s_add_i32 s19, s22, s19
	s_waitcnt vmcnt(0)
	v_lshl_add_u64 v[2:3], v[6:7], 0, s[18:19]
	v_mov_b32_e32 v8, s0
	global_store_dwordx2 v[2:3], v[10:11], off
	v_mov_b32_e32 v9, s1
	buffer_wbl2 sc0 sc1
	s_waitcnt vmcnt(0)
	global_atomic_cmpswap_x2 v[8:9], v47, v[8:11], s[4:5] offset:24 sc0 sc1
	s_waitcnt vmcnt(0)
	v_cmp_ne_u64_e32 vcc, v[8:9], v[10:11]
	s_and_b64 exec, exec, vcc
	s_cbranch_execz .LBB1_434
; %bb.515:                              ;   in Loop: Header=BB1_435 Depth=3
	s_mov_b64 s[18:19], 0
.LBB1_516:                              ;   Parent Loop BB1_13 Depth=1
                                        ;     Parent Loop BB1_228 Depth=2
                                        ;       Parent Loop BB1_435 Depth=3
                                        ; =>      This Inner Loop Header: Depth=4
	s_sleep 1
	global_store_dwordx2 v[2:3], v[8:9], off
	v_mov_b32_e32 v6, s0
	v_mov_b32_e32 v7, s1
	buffer_wbl2 sc0 sc1
	s_waitcnt vmcnt(0)
	global_atomic_cmpswap_x2 v[6:7], v47, v[6:9], s[4:5] offset:24 sc0 sc1
	s_waitcnt vmcnt(0)
	v_cmp_eq_u64_e32 vcc, v[6:7], v[8:9]
	s_or_b64 s[18:19], vcc, s[18:19]
	v_mov_b64_e32 v[8:9], v[6:7]
	s_andn2_b64 exec, exec, s[18:19]
	s_cbranch_execnz .LBB1_516
	s_branch .LBB1_434
.LBB1_517:                              ;   in Loop: Header=BB1_228 Depth=2
	s_branch .LBB1_545
.LBB1_518:                              ;   in Loop: Header=BB1_228 Depth=2
	s_cbranch_execz .LBB1_545
; %bb.519:                              ;   in Loop: Header=BB1_228 Depth=2
	v_readfirstlane_b32 s0, v105
	v_mov_b64_e32 v[6:7], 0
	s_nop 0
	v_cmp_eq_u32_e64 s[0:1], s0, v105
	s_and_saveexec_b64 s[12:13], s[0:1]
	s_cbranch_execz .LBB1_525
; %bb.520:                              ;   in Loop: Header=BB1_228 Depth=2
	global_load_dwordx2 v[2:3], v47, s[4:5] offset:24 sc0 sc1
	s_waitcnt vmcnt(0)
	buffer_inv sc0 sc1
	global_load_dwordx2 v[0:1], v47, s[4:5] offset:40
	global_load_dwordx2 v[6:7], v47, s[4:5]
	s_waitcnt vmcnt(1)
	v_and_b32_e32 v0, v0, v2
	v_and_b32_e32 v1, v1, v3
	v_mul_lo_u32 v1, v1, 24
	v_mul_hi_u32 v8, v0, 24
	v_add_u32_e32 v1, v8, v1
	v_mul_lo_u32 v0, v0, 24
	s_waitcnt vmcnt(0)
	v_lshl_add_u64 v[0:1], v[6:7], 0, v[0:1]
	global_load_dwordx2 v[0:1], v[0:1], off sc0 sc1
	s_waitcnt vmcnt(0)
	global_atomic_cmpswap_x2 v[6:7], v47, v[0:3], s[4:5] offset:24 sc0 sc1
	s_waitcnt vmcnt(0)
	buffer_inv sc0 sc1
	v_cmp_ne_u64_e32 vcc, v[6:7], v[2:3]
	s_and_saveexec_b64 s[14:15], vcc
	s_cbranch_execz .LBB1_524
; %bb.521:                              ;   in Loop: Header=BB1_228 Depth=2
	s_mov_b64 s[16:17], 0
.LBB1_522:                              ;   Parent Loop BB1_13 Depth=1
                                        ;     Parent Loop BB1_228 Depth=2
                                        ; =>    This Inner Loop Header: Depth=3
	s_sleep 1
	global_load_dwordx2 v[0:1], v47, s[4:5] offset:40
	global_load_dwordx2 v[8:9], v47, s[4:5]
	v_mov_b64_e32 v[2:3], v[6:7]
	s_waitcnt vmcnt(1)
	v_and_b32_e32 v0, v0, v2
	v_and_b32_e32 v7, v1, v3
	s_waitcnt vmcnt(0)
	v_mad_u64_u32 v[0:1], s[18:19], v0, 24, v[8:9]
	v_mov_b32_e32 v6, v1
	v_mad_u64_u32 v[6:7], s[18:19], v7, 24, v[6:7]
	v_mov_b32_e32 v1, v6
	global_load_dwordx2 v[0:1], v[0:1], off sc0 sc1
	s_waitcnt vmcnt(0)
	global_atomic_cmpswap_x2 v[6:7], v47, v[0:3], s[4:5] offset:24 sc0 sc1
	s_waitcnt vmcnt(0)
	buffer_inv sc0 sc1
	v_cmp_eq_u64_e32 vcc, v[6:7], v[2:3]
	s_or_b64 s[16:17], vcc, s[16:17]
	s_andn2_b64 exec, exec, s[16:17]
	s_cbranch_execnz .LBB1_522
; %bb.523:                              ;   in Loop: Header=BB1_228 Depth=2
	s_or_b64 exec, exec, s[16:17]
.LBB1_524:                              ;   in Loop: Header=BB1_228 Depth=2
	s_or_b64 exec, exec, s[14:15]
.LBB1_525:                              ;   in Loop: Header=BB1_228 Depth=2
	s_or_b64 exec, exec, s[12:13]
	global_load_dwordx2 v[8:9], v47, s[4:5] offset:40
	global_load_dwordx4 v[0:3], v47, s[4:5]
	v_readfirstlane_b32 s13, v7
	v_readfirstlane_b32 s12, v6
	s_mov_b64 s[14:15], exec
	s_waitcnt vmcnt(1)
	v_readfirstlane_b32 s16, v8
	v_readfirstlane_b32 s17, v9
	s_and_b64 s[16:17], s[16:17], s[12:13]
	s_mul_i32 s18, s17, 24
	s_mul_hi_u32 s19, s16, 24
	s_add_i32 s19, s19, s18
	s_mul_i32 s18, s16, 24
	s_waitcnt vmcnt(0)
	v_lshl_add_u64 v[6:7], v[0:1], 0, s[18:19]
	s_and_saveexec_b64 s[18:19], s[0:1]
	s_cbranch_execz .LBB1_527
; %bb.526:                              ;   in Loop: Header=BB1_228 Depth=2
	v_mov_b64_e32 v[56:57], s[14:15]
	global_store_dwordx4 v[6:7], v[56:59], off offset:8
.LBB1_527:                              ;   in Loop: Header=BB1_228 Depth=2
	s_or_b64 exec, exec, s[18:19]
	s_lshl_b64 s[14:15], s[16:17], 12
	s_mov_b32 s57, s56
	v_lshl_add_u64 v[2:3], v[2:3], 0, s[14:15]
	s_mov_b32 s58, s56
	s_mov_b32 s59, s56
	v_mov_b64_e32 v[8:9], s[56:57]
	v_and_or_b32 v44, v44, s90, 34
	v_mov_b32_e32 v46, v47
	v_readfirstlane_b32 s14, v2
	v_readfirstlane_b32 s15, v3
	v_mov_b64_e32 v[10:11], s[58:59]
	s_nop 3
	global_store_dwordx4 v24, v[44:47], s[14:15]
	global_store_dwordx4 v24, v[8:11], s[14:15] offset:16
	global_store_dwordx4 v24, v[8:11], s[14:15] offset:32
	;; [unrolled: 1-line block ×3, first 2 shown]
	s_and_saveexec_b64 s[14:15], s[0:1]
	s_cbranch_execz .LBB1_535
; %bb.528:                              ;   in Loop: Header=BB1_228 Depth=2
	global_load_dwordx2 v[12:13], v47, s[4:5] offset:32 sc0 sc1
	global_load_dwordx2 v[2:3], v47, s[4:5] offset:40
	v_mov_b32_e32 v10, s12
	v_mov_b32_e32 v11, s13
	s_waitcnt vmcnt(0)
	v_readfirstlane_b32 s16, v2
	v_readfirstlane_b32 s17, v3
	s_and_b64 s[16:17], s[16:17], s[12:13]
	s_mul_i32 s17, s17, 24
	s_mul_hi_u32 s18, s16, 24
	s_mul_i32 s16, s16, 24
	s_add_i32 s17, s18, s17
	v_lshl_add_u64 v[8:9], v[0:1], 0, s[16:17]
	global_store_dwordx2 v[8:9], v[12:13], off
	buffer_wbl2 sc0 sc1
	s_waitcnt vmcnt(0)
	global_atomic_cmpswap_x2 v[2:3], v47, v[10:13], s[4:5] offset:32 sc0 sc1
	s_waitcnt vmcnt(0)
	v_cmp_ne_u64_e32 vcc, v[2:3], v[12:13]
	s_and_saveexec_b64 s[16:17], vcc
	s_cbranch_execz .LBB1_531
; %bb.529:                              ;   in Loop: Header=BB1_228 Depth=2
	s_mov_b64 s[18:19], 0
.LBB1_530:                              ;   Parent Loop BB1_13 Depth=1
                                        ;     Parent Loop BB1_228 Depth=2
                                        ; =>    This Inner Loop Header: Depth=3
	s_sleep 1
	global_store_dwordx2 v[8:9], v[2:3], off
	v_mov_b32_e32 v0, s12
	v_mov_b32_e32 v1, s13
	buffer_wbl2 sc0 sc1
	s_waitcnt vmcnt(0)
	global_atomic_cmpswap_x2 v[0:1], v47, v[0:3], s[4:5] offset:32 sc0 sc1
	s_waitcnt vmcnt(0)
	v_cmp_eq_u64_e32 vcc, v[0:1], v[2:3]
	s_or_b64 s[18:19], vcc, s[18:19]
	v_mov_b64_e32 v[2:3], v[0:1]
	s_andn2_b64 exec, exec, s[18:19]
	s_cbranch_execnz .LBB1_530
.LBB1_531:                              ;   in Loop: Header=BB1_228 Depth=2
	s_or_b64 exec, exec, s[16:17]
	global_load_dwordx2 v[0:1], v47, s[4:5] offset:16
	s_mov_b64 s[18:19], exec
	v_mbcnt_lo_u32_b32 v2, s18, 0
	v_mbcnt_hi_u32_b32 v2, s19, v2
	v_cmp_eq_u32_e32 vcc, 0, v2
	s_and_saveexec_b64 s[16:17], vcc
	s_cbranch_execz .LBB1_533
; %bb.532:                              ;   in Loop: Header=BB1_228 Depth=2
	s_bcnt1_i32_b64 s18, s[18:19]
	v_mov_b32_e32 v46, s18
	buffer_wbl2 sc0 sc1
	s_waitcnt vmcnt(0)
	global_atomic_add_x2 v[0:1], v[46:47], off offset:8 sc1
.LBB1_533:                              ;   in Loop: Header=BB1_228 Depth=2
	s_or_b64 exec, exec, s[16:17]
	s_waitcnt vmcnt(0)
	global_load_dwordx2 v[2:3], v[0:1], off offset:16
	s_waitcnt vmcnt(0)
	v_cmp_eq_u64_e32 vcc, 0, v[2:3]
	s_cbranch_vccnz .LBB1_535
; %bb.534:                              ;   in Loop: Header=BB1_228 Depth=2
	global_load_dword v46, v[0:1], off offset:24
	s_waitcnt vmcnt(0)
	v_readfirstlane_b32 s16, v46
	s_and_b32 m0, s16, 0xffffff
	buffer_wbl2 sc0 sc1
	global_store_dwordx2 v[2:3], v[46:47], off sc0 sc1
	s_sendmsg sendmsg(MSG_INTERRUPT)
.LBB1_535:                              ;   in Loop: Header=BB1_228 Depth=2
	s_or_b64 exec, exec, s[14:15]
	s_branch .LBB1_539
.LBB1_536:                              ;   in Loop: Header=BB1_539 Depth=3
	s_or_b64 exec, exec, s[14:15]
	v_readfirstlane_b32 s14, v0
	s_cmp_eq_u32 s14, 0
	s_cbranch_scc1 .LBB1_538
; %bb.537:                              ;   in Loop: Header=BB1_539 Depth=3
	s_sleep 1
	s_cbranch_execnz .LBB1_539
	s_branch .LBB1_541
.LBB1_538:                              ;   in Loop: Header=BB1_228 Depth=2
	s_branch .LBB1_541
.LBB1_539:                              ;   Parent Loop BB1_13 Depth=1
                                        ;     Parent Loop BB1_228 Depth=2
                                        ; =>    This Inner Loop Header: Depth=3
	v_mov_b32_e32 v0, 1
	s_and_saveexec_b64 s[14:15], s[0:1]
	s_cbranch_execz .LBB1_536
; %bb.540:                              ;   in Loop: Header=BB1_539 Depth=3
	global_load_dword v0, v[6:7], off offset:20 sc0 sc1
	s_waitcnt vmcnt(0)
	buffer_inv sc0 sc1
	v_and_b32_e32 v0, 1, v0
	s_branch .LBB1_536
.LBB1_541:                              ;   in Loop: Header=BB1_228 Depth=2
	s_and_b64 exec, exec, s[0:1]
	s_cbranch_execz .LBB1_545
; %bb.542:                              ;   in Loop: Header=BB1_228 Depth=2
	global_load_dwordx2 v[0:1], v47, s[4:5] offset:40
	global_load_dwordx2 v[10:11], v47, s[4:5] offset:24 sc0 sc1
	global_load_dwordx2 v[2:3], v47, s[4:5]
	s_waitcnt vmcnt(2)
	v_readfirstlane_b32 s14, v0
	v_readfirstlane_b32 s15, v1
	s_add_u32 s16, s14, 1
	s_addc_u32 s17, s15, 0
	s_add_u32 s0, s16, s12
	s_addc_u32 s1, s17, s13
	s_cmp_eq_u64 s[0:1], 0
	s_cselect_b32 s1, s17, s1
	s_cselect_b32 s0, s16, s0
	s_and_b64 s[12:13], s[0:1], s[14:15]
	s_mul_i32 s13, s13, 24
	s_mul_hi_u32 s14, s12, 24
	s_mul_i32 s12, s12, 24
	s_add_i32 s13, s14, s13
	s_waitcnt vmcnt(0)
	v_lshl_add_u64 v[6:7], v[2:3], 0, s[12:13]
	v_mov_b32_e32 v8, s0
	global_store_dwordx2 v[6:7], v[10:11], off
	v_mov_b32_e32 v9, s1
	buffer_wbl2 sc0 sc1
	s_waitcnt vmcnt(0)
	global_atomic_cmpswap_x2 v[2:3], v47, v[8:11], s[4:5] offset:24 sc0 sc1
	s_waitcnt vmcnt(0)
	v_cmp_ne_u64_e32 vcc, v[2:3], v[10:11]
	s_and_b64 exec, exec, vcc
	s_cbranch_execz .LBB1_545
; %bb.543:                              ;   in Loop: Header=BB1_228 Depth=2
	s_mov_b64 s[12:13], 0
.LBB1_544:                              ;   Parent Loop BB1_13 Depth=1
                                        ;     Parent Loop BB1_228 Depth=2
                                        ; =>    This Inner Loop Header: Depth=3
	s_sleep 1
	global_store_dwordx2 v[6:7], v[2:3], off
	v_mov_b32_e32 v0, s0
	v_mov_b32_e32 v1, s1
	buffer_wbl2 sc0 sc1
	s_waitcnt vmcnt(0)
	global_atomic_cmpswap_x2 v[0:1], v47, v[0:3], s[4:5] offset:24 sc0 sc1
	s_waitcnt vmcnt(0)
	v_cmp_eq_u64_e32 vcc, v[0:1], v[2:3]
	s_or_b64 s[12:13], vcc, s[12:13]
	v_mov_b64_e32 v[2:3], v[0:1]
	s_andn2_b64 exec, exec, s[12:13]
	s_cbranch_execnz .LBB1_544
.LBB1_545:                              ;   in Loop: Header=BB1_228 Depth=2
	s_or_b64 exec, exec, s[2:3]
	scratch_load_ubyte v0, off, off
	s_waitcnt vmcnt(0)
	v_mov_b32_e32 v2, 0x58
	v_cmp_lt_i32_e32 vcc, 0, v29
	global_store_byte v[22:23], v2, off offset:48
	global_store_dword v[22:23], v47, off offset:52
	s_and_saveexec_b64 s[12:13], vcc
	s_cbranch_execz .LBB1_551
; %bb.546:                              ;   in Loop: Header=BB1_228 Depth=2
	v_cmp_lt_u32_e32 vcc, 3, v29
	s_mov_b64 s[0:1], 0
                                        ; implicit-def: $vgpr1
	s_and_saveexec_b64 s[2:3], vcc
	s_xor_b64 s[14:15], exec, s[2:3]
	s_cbranch_execnz .LBB1_559
; %bb.547:                              ;   in Loop: Header=BB1_228 Depth=2
	s_andn2_saveexec_b64 s[2:3], s[14:15]
	s_cbranch_execnz .LBB1_578
.LBB1_548:                              ;   in Loop: Header=BB1_228 Depth=2
	s_or_b64 exec, exec, s[2:3]
	v_mov_b32_e32 v2, 0x58
	s_and_saveexec_b64 s[2:3], s[0:1]
	s_cbranch_execz .LBB1_550
.LBB1_549:                              ;   in Loop: Header=BB1_228 Depth=2
	s_waitcnt vmcnt(0)
	v_mov_b32_e32 v2, v1
	global_store_byte v[22:23], v1, off offset:48
.LBB1_550:                              ;   in Loop: Header=BB1_228 Depth=2
	s_or_b64 exec, exec, s[2:3]
.LBB1_551:                              ;   in Loop: Header=BB1_228 Depth=2
	s_or_b64 exec, exec, s[12:13]
	v_cmp_eq_u16_sdwa s[0:1], v0, v2 src0_sel:BYTE_0 src1_sel:BYTE_0
	v_cmp_ne_u16_sdwa s[4:5], v0, v2 src0_sel:BYTE_0 src1_sel:BYTE_0
	v_mov_b32_e32 v0, 0
	s_and_saveexec_b64 s[2:3], s[4:5]
	s_cbranch_execz .LBB1_557
; %bb.552:                              ;   in Loop: Header=BB1_228 Depth=2
	scratch_load_ubyte v0, off, off offset:16
	s_waitcnt vmcnt(0)
	v_cmp_eq_u16_sdwa s[4:5], v0, v2 src0_sel:DWORD src1_sel:BYTE_0
	v_cmp_ne_u16_sdwa s[14:15], v0, v2 src0_sel:DWORD src1_sel:BYTE_0
	v_mov_b32_e32 v0, s41
	s_and_saveexec_b64 s[12:13], s[14:15]
	s_cbranch_execz .LBB1_556
; %bb.553:                              ;   in Loop: Header=BB1_228 Depth=2
	scratch_load_ubyte v0, off, off offset:32
	s_waitcnt vmcnt(0)
	v_cmp_eq_u16_sdwa s[14:15], v0, v2 src0_sel:DWORD src1_sel:BYTE_0
	v_cmp_ne_u16_sdwa s[18:19], v0, v2 src0_sel:DWORD src1_sel:BYTE_0
	v_mov_b32_e32 v0, s88
	s_and_saveexec_b64 s[16:17], s[18:19]
	s_cbranch_execz .LBB1_555
; %bb.554:                              ;   in Loop: Header=BB1_228 Depth=2
	scratch_load_ubyte v1, off, off offset:48
	s_andn2_b64 s[14:15], s[14:15], exec
	v_mov_b32_e32 v0, s89
	s_waitcnt vmcnt(0)
	v_cmp_eq_u16_sdwa s[18:19], v1, v2 src0_sel:DWORD src1_sel:BYTE_0
	s_and_b64 s[18:19], s[18:19], exec
	s_or_b64 s[14:15], s[14:15], s[18:19]
.LBB1_555:                              ;   in Loop: Header=BB1_228 Depth=2
	s_or_b64 exec, exec, s[16:17]
	s_andn2_b64 s[4:5], s[4:5], exec
	s_and_b64 s[14:15], s[14:15], exec
	s_or_b64 s[4:5], s[4:5], s[14:15]
.LBB1_556:                              ;   in Loop: Header=BB1_228 Depth=2
	s_or_b64 exec, exec, s[12:13]
	s_andn2_b64 s[0:1], s[0:1], exec
	s_and_b64 s[4:5], s[4:5], exec
	s_or_b64 s[0:1], s[0:1], s[4:5]
.LBB1_557:                              ;   in Loop: Header=BB1_228 Depth=2
	s_or_b64 exec, exec, s[2:3]
	s_and_b64 exec, exec, s[0:1]
	s_cbranch_execz .LBB1_227
; %bb.558:                              ;   in Loop: Header=BB1_228 Depth=2
	scratch_load_dword v0, v0, off offset:8
	s_waitcnt vmcnt(0)
	global_store_dword v[22:23], v0, off offset:52
	s_branch .LBB1_227
.LBB1_559:                              ;   in Loop: Header=BB1_228 Depth=2
	v_cmp_lt_u32_e32 vcc, 5, v29
                                        ; implicit-def: $vgpr1
	s_and_saveexec_b64 s[2:3], vcc
	s_xor_b64 s[16:17], exec, s[2:3]
	s_cbranch_execz .LBB1_575
; %bb.560:                              ;   in Loop: Header=BB1_228 Depth=2
	v_cmp_ne_u32_e32 vcc, 6, v29
                                        ; implicit-def: $vgpr1
	s_and_saveexec_b64 s[2:3], vcc
	s_xor_b64 s[18:19], exec, s[2:3]
	s_cbranch_execz .LBB1_572
; %bb.561:                              ;   in Loop: Header=BB1_228 Depth=2
	v_cmp_gt_i32_e32 vcc, 7, v28
	v_cmp_lt_i32_e64 s[0:1], 6, v28
	v_mov_b32_e32 v1, v0
	s_and_saveexec_b64 s[20:21], s[0:1]
	s_cbranch_execz .LBB1_571
; %bb.562:                              ;   in Loop: Header=BB1_228 Depth=2
	scratch_load_dword v1, off, off offset:44
	s_waitcnt vmcnt(0)
	v_cmp_eq_u32_e64 s[0:1], 7, v1
	v_cmp_ne_u32_e64 s[2:3], 7, v1
	v_mov_b32_e32 v1, 0x46
	s_and_saveexec_b64 s[22:23], s[2:3]
	s_cbranch_execz .LBB1_570
; %bb.563:                              ;   in Loop: Header=BB1_228 Depth=2
	scratch_load_dword v2, off, off offset:8
	scratch_load_dword v3, off, off offset:24
	v_mov_b32_e32 v1, 0x46
	s_waitcnt vmcnt(0)
	v_cmp_eq_u32_e64 s[2:3], v2, v3
	v_cmp_ne_u32_e64 s[4:5], v2, v3
	s_and_saveexec_b64 s[24:25], s[4:5]
	s_cbranch_execz .LBB1_569
; %bb.564:                              ;   in Loop: Header=BB1_228 Depth=2
	v_cmp_le_u32_e64 s[4:5], v2, v3
	s_mov_b64 s[28:29], -1
	v_mov_b32_e32 v1, v0
	s_and_saveexec_b64 s[26:27], s[4:5]
	s_cbranch_execz .LBB1_568
; %bb.565:                              ;   in Loop: Header=BB1_228 Depth=2
	v_cmp_gt_u32_e64 s[4:5], v3, v2
	s_mov_b64 s[28:29], 0
	v_mov_b32_e32 v1, v0
	s_and_saveexec_b64 s[30:31], s[4:5]
	s_xor_b64 s[4:5], exec, s[30:31]
	s_cbranch_execz .LBB1_567
; %bb.566:                              ;   in Loop: Header=BB1_228 Depth=2
	scratch_load_ubyte v1, off, off offset:16
	s_mov_b64 s[28:29], exec
.LBB1_567:                              ;   in Loop: Header=BB1_228 Depth=2
	s_or_b64 exec, exec, s[4:5]
	s_orn2_b64 s[28:29], s[28:29], exec
.LBB1_568:                              ;   in Loop: Header=BB1_228 Depth=2
	s_or_b64 exec, exec, s[26:27]
	s_andn2_b64 s[2:3], s[2:3], exec
	s_and_b64 s[4:5], s[28:29], exec
	s_or_b64 s[2:3], s[2:3], s[4:5]
.LBB1_569:                              ;   in Loop: Header=BB1_228 Depth=2
	s_or_b64 exec, exec, s[24:25]
	s_andn2_b64 s[0:1], s[0:1], exec
	s_and_b64 s[2:3], s[2:3], exec
	s_or_b64 s[0:1], s[0:1], s[2:3]
.LBB1_570:                              ;   in Loop: Header=BB1_228 Depth=2
	s_or_b64 exec, exec, s[22:23]
	s_andn2_b64 s[2:3], vcc, exec
	s_and_b64 s[0:1], s[0:1], exec
	s_or_b64 vcc, s[2:3], s[0:1]
.LBB1_571:                              ;   in Loop: Header=BB1_228 Depth=2
	s_or_b64 exec, exec, s[20:21]
	s_and_b64 s[0:1], vcc, exec
                                        ; implicit-def: $vgpr28
.LBB1_572:                              ;   in Loop: Header=BB1_228 Depth=2
	s_andn2_saveexec_b64 s[2:3], s[18:19]
	s_cbranch_execz .LBB1_574
; %bb.573:                              ;   in Loop: Header=BB1_228 Depth=2
	v_cmp_gt_i32_e32 vcc, 4, v28
	s_andn2_b64 s[0:1], s[0:1], exec
	s_and_b64 s[4:5], vcc, exec
	s_or_b64 s[0:1], s[0:1], s[4:5]
	s_waitcnt vmcnt(0)
	v_mov_b32_e32 v1, v0
.LBB1_574:                              ;   in Loop: Header=BB1_228 Depth=2
	s_or_b64 exec, exec, s[2:3]
	s_and_b64 s[0:1], s[0:1], exec
                                        ; implicit-def: $vgpr28
.LBB1_575:                              ;   in Loop: Header=BB1_228 Depth=2
	s_andn2_saveexec_b64 s[2:3], s[16:17]
	s_cbranch_execz .LBB1_577
; %bb.576:                              ;   in Loop: Header=BB1_228 Depth=2
	v_cmp_gt_i32_e32 vcc, 3, v28
	s_andn2_b64 s[0:1], s[0:1], exec
	s_and_b64 s[4:5], vcc, exec
	s_or_b64 s[0:1], s[0:1], s[4:5]
	s_waitcnt vmcnt(0)
	v_mov_b32_e32 v1, v0
.LBB1_577:                              ;   in Loop: Header=BB1_228 Depth=2
	s_or_b64 exec, exec, s[2:3]
	s_and_b64 s[0:1], s[0:1], exec
                                        ; implicit-def: $vgpr28
	s_andn2_saveexec_b64 s[2:3], s[14:15]
	s_cbranch_execz .LBB1_548
.LBB1_578:                              ;   in Loop: Header=BB1_228 Depth=2
	v_cmp_eq_u32_e32 vcc, 0, v28
	s_andn2_b64 s[0:1], s[0:1], exec
	s_and_b64 s[4:5], vcc, exec
	s_or_b64 s[0:1], s[0:1], s[4:5]
	s_waitcnt vmcnt(0)
	v_mov_b32_e32 v1, v0
	s_or_b64 exec, exec, s[2:3]
	v_mov_b32_e32 v2, 0x58
	s_and_saveexec_b64 s[2:3], s[0:1]
	s_cbranch_execnz .LBB1_549
	s_branch .LBB1_550
.LBB1_579:                              ;   in Loop: Header=BB1_13 Depth=1
	s_or_b64 exec, exec, s[6:7]
	s_and_saveexec_b64 s[0:1], s[44:45]
	s_cbranch_execz .LBB1_582
; %bb.580:                              ;   in Loop: Header=BB1_13 Depth=1
	s_mov_b64 s[2:3], 0
	v_mov_b32_e32 v46, v89
	s_waitcnt vmcnt(0)
	v_mov_b64_e32 v[0:1], v[78:79]
.LBB1_581:                              ;   Parent Loop BB1_13 Depth=1
                                        ; =>  This Inner Loop Header: Depth=2
	v_mad_u64_u32 v[2:3], s[4:5], v0, 24, v[70:71]
	v_mov_b32_e32 v0, v3
	v_cmp_le_u64_e32 vcc, s[62:63], v[46:47]
	v_mad_u64_u32 v[6:7], s[4:5], v1, 24, v[0:1]
	s_or_b64 s[2:3], vcc, s[2:3]
	v_mov_b64_e32 v[0:1], v[46:47]
	v_add_u32_e32 v46, 32, v46
	v_mov_b32_e32 v3, v6
	global_store_dword v[2:3], v104, off offset:8
	s_andn2_b64 exec, exec, s[2:3]
	s_cbranch_execnz .LBB1_581
.LBB1_582:                              ;   in Loop: Header=BB1_13 Depth=1
	s_or_b64 exec, exec, s[0:1]
	s_mov_b64 s[4:5], -1
	s_mov_b64 s[0:1], -1
	s_and_saveexec_b64 s[6:7], s[46:47]
	s_cbranch_execz .LBB1_723
; %bb.583:                              ;   in Loop: Header=BB1_13 Depth=1
	v_sub_u32_e32 v0, v43, v4
	s_waitcnt vmcnt(0)
	v_ashrrev_i32_e32 v1, 31, v0
	v_lshl_add_u64 v[0:1], v[74:75], 0, v[0:1]
	v_max_i32_e32 v2, 1, v4
	s_mov_b64 s[0:1], 0
	s_mov_b64 s[2:3], 0
.LBB1_584:                              ;   Parent Loop BB1_13 Depth=1
                                        ; =>  This Inner Loop Header: Depth=2
	v_lshl_add_u64 v[6:7], v[0:1], 0, s[2:3]
	global_load_ubyte v3, v[6:7], off
	v_lshl_add_u64 v[6:7], v[76:77], 0, s[2:3]
	s_add_u32 s2, s2, 1
	s_addc_u32 s3, s3, 0
	v_cmp_eq_u32_e32 vcc, s2, v2
	s_or_b64 s[0:1], vcc, s[0:1]
	s_waitcnt vmcnt(0)
	global_store_byte v[6:7], v3, off
	s_andn2_b64 exec, exec, s[0:1]
	s_cbranch_execnz .LBB1_584
; %bb.585:                              ;   in Loop: Header=BB1_13 Depth=1
	s_or_b64 exec, exec, s[0:1]
	v_mov_b32_e32 v0, v4
	s_andn2_b64 vcc, exec, s[74:75]
	v_mov_b32_e32 v1, v47
	s_cbranch_vccnz .LBB1_709
; %bb.586:                              ;   in Loop: Header=BB1_13 Depth=1
	v_xor_b32_e32 v10, 0x3fb0bb5f, v4
	v_add_u32_e32 v11, 4, v4
	v_mov_b32_e32 v12, 0x58
	v_mov_b32_e32 v5, 0
	s_mov_b64 s[8:9], 0
	s_mov_b32 s28, 0
	v_mov_b64_e32 v[2:3], v[76:77]
	s_branch .LBB1_591
.LBB1_587:                              ;   in Loop: Header=BB1_591 Depth=2
	s_or_b64 exec, exec, s[18:19]
	s_and_b64 s[0:1], vcc, s[0:1]
	s_and_b64 s[2:3], s[0:1], exec
.LBB1_588:                              ;   in Loop: Header=BB1_591 Depth=2
	s_or_b64 exec, exec, s[14:15]
	s_and_b64 s[0:1], s[2:3], exec
.LBB1_589:                              ;   in Loop: Header=BB1_591 Depth=2
	s_or_b64 exec, exec, s[12:13]
	s_and_b64 s[0:1], s[0:1], exec
.LBB1_590:                              ;   in Loop: Header=BB1_591 Depth=2
	s_or_b64 exec, exec, s[10:11]
	s_add_i32 s28, s28, 1
	s_cmp_eq_u32 s28, s62
	s_cselect_b64 s[2:3], -1, 0
	s_xor_b64 s[0:1], s[0:1], -1
	s_or_b64 s[0:1], s[0:1], s[2:3]
	s_and_b64 s[0:1], exec, s[0:1]
	s_or_b64 s[8:9], s[0:1], s[8:9]
	v_mov_b32_e32 v12, v15
	s_andn2_b64 exec, exec, s[8:9]
	s_cbranch_execz .LBB1_708
.LBB1_591:                              ;   Parent Loop BB1_13 Depth=1
                                        ; =>  This Loop Header: Depth=2
                                        ;       Child Loop BB1_597 Depth 3
                                        ;       Child Loop BB1_616 Depth 3
                                        ;       Child Loop BB1_625 Depth 3
                                        ;         Child Loop BB1_627 Depth 4
                                        ;       Child Loop BB1_641 Depth 3
                                        ;       Child Loop BB1_660 Depth 3
	;; [unrolled: 1-line block ×3, first 2 shown]
                                        ;         Child Loop BB1_671 Depth 4
	v_and_b32_e32 v46, 3, v2
	v_cmp_ne_u32_e32 vcc, 0, v46
                                        ; implicit-def: $vgpr16
	s_and_saveexec_b64 s[0:1], vcc
	s_xor_b64 s[2:3], exec, s[0:1]
	s_cbranch_execz .LBB1_614
; %bb.592:                              ;   in Loop: Header=BB1_591 Depth=2
	v_cmp_gt_i32_e64 s[0:1], 3, v46
	v_mov_b32_e32 v8, 0
	s_and_saveexec_b64 s[10:11], s[0:1]
	s_cbranch_execz .LBB1_596
; %bb.593:                              ;   in Loop: Header=BB1_591 Depth=2
	v_cmp_ne_u32_e64 s[0:1], 2, v46
	v_mov_b32_e32 v6, 0
	s_and_saveexec_b64 s[12:13], s[0:1]
	s_cbranch_execz .LBB1_595
; %bb.594:                              ;   in Loop: Header=BB1_591 Depth=2
	global_load_ubyte v6, v[2:3], off offset:2
	s_waitcnt vmcnt(0)
	v_lshlrev_b32_e32 v6, 16, v6
.LBB1_595:                              ;   in Loop: Header=BB1_591 Depth=2
	s_or_b64 exec, exec, s[12:13]
	global_load_ubyte v7, v[2:3], off offset:1
	s_waitcnt vmcnt(0)
	v_lshl_or_b32 v8, v7, 8, v6
.LBB1_596:                              ;   in Loop: Header=BB1_591 Depth=2
	s_or_b64 exec, exec, s[10:11]
	global_load_ubyte v9, v[2:3], off
	v_lshlrev_b32_e32 v18, 3, v46
	v_sub_u32_e32 v16, 4, v46
	v_mov_b32_e32 v17, v47
	v_add_u32_e32 v15, v4, v46
	s_mov_b64 s[10:11], 0
	v_lshl_add_u64 v[6:7], v[2:3], 0, v[16:17]
	v_lshlrev_b32_e32 v17, 3, v16
	v_mov_b32_e32 v14, v10
	s_waitcnt vmcnt(0)
	v_or_b32_e32 v8, v8, v9
	v_lshlrev_b32_e32 v8, v18, v8
.LBB1_597:                              ;   Parent Loop BB1_13 Depth=1
                                        ;     Parent Loop BB1_591 Depth=2
                                        ; =>    This Inner Loop Header: Depth=3
	global_load_dword v13, v[6:7], off
	v_lshrrev_b32_e32 v8, v18, v8
	v_mul_lo_u32 v9, v14, s99
	v_add_u32_e32 v15, -4, v15
	v_cmp_gt_u32_e64 s[0:1], 8, v15
	v_lshl_add_u64 v[6:7], v[6:7], 0, 4
	s_or_b64 s[10:11], s[0:1], s[10:11]
	s_waitcnt vmcnt(0)
	v_lshl_or_b32 v14, v13, v17, v8
	v_mul_lo_u32 v14, v14, s99
	v_xor_b32_sdwa v14, v14, v14 dst_sel:DWORD dst_unused:UNUSED_PAD src0_sel:BYTE_3 src1_sel:DWORD
	v_mul_lo_u32 v14, v14, s99
	v_mov_b32_e32 v8, v13
	v_xor_b32_e32 v14, v14, v9
	s_andn2_b64 exec, exec, s[10:11]
	s_cbranch_execnz .LBB1_597
; %bb.598:                              ;   in Loop: Header=BB1_591 Depth=2
	s_or_b64 exec, exec, s[10:11]
	v_add_u32_e32 v19, -4, v15
	v_lshl_add_u64 v[8:9], v[6:7], 0, -4
	v_cmp_ge_u32_e64 s[0:1], v19, v46
                                        ; implicit-def: $vgpr16
	s_and_saveexec_b64 s[10:11], s[0:1]
	s_xor_b64 s[10:11], exec, s[10:11]
	s_cbranch_execz .LBB1_608
; %bb.599:                              ;   in Loop: Header=BB1_591 Depth=2
	v_cmp_lt_i32_e64 s[0:1], 2, v46
	s_mov_b64 s[12:13], 0
                                        ; implicit-def: $vgpr16
	s_and_saveexec_b64 s[14:15], s[0:1]
	s_xor_b64 s[0:1], exec, s[14:15]
	s_cbranch_execnz .LBB1_686
; %bb.600:                              ;   in Loop: Header=BB1_591 Depth=2
	s_andn2_saveexec_b64 s[14:15], s[0:1]
	s_cbranch_execnz .LBB1_687
.LBB1_601:                              ;   in Loop: Header=BB1_591 Depth=2
	s_or_b64 exec, exec, s[14:15]
	v_mov_b32_e32 v20, 0
	s_and_saveexec_b64 s[0:1], s[12:13]
	s_cbranch_execz .LBB1_603
.LBB1_602:                              ;   in Loop: Header=BB1_591 Depth=2
	global_load_ubyte v20, v[8:9], off offset:5
	s_waitcnt vmcnt(0)
	v_lshl_or_b32 v20, v20, 8, v16
.LBB1_603:                              ;   in Loop: Header=BB1_591 Depth=2
	s_or_b64 exec, exec, s[0:1]
	global_load_ubyte v16, v[6:7], off
	v_lshrrev_b32_e32 v21, v18, v13
	v_mul_lo_u32 v22, v14, s99
	v_sub_u32_e32 v18, v19, v46
	v_lshl_add_u64 v[8:9], v[8:9], 0, v[46:47]
	v_cmp_lt_i32_e64 s[0:1], 1, v18
	s_mov_b64 s[12:13], 0
	s_waitcnt vmcnt(0)
	v_or_b32_e32 v16, v20, v16
	v_lshl_or_b32 v16, v16, v17, v21
	v_mul_lo_u32 v16, v16, s99
	v_xor_b32_sdwa v16, v16, v16 dst_sel:DWORD dst_unused:UNUSED_PAD src0_sel:BYTE_3 src1_sel:DWORD
	v_mul_lo_u32 v16, v16, s99
	v_xor_b32_e32 v16, v16, v22
                                        ; implicit-def: $vgpr17
	s_and_saveexec_b64 s[14:15], s[0:1]
	s_xor_b64 s[0:1], exec, s[14:15]
	s_cbranch_execnz .LBB1_688
; %bb.604:                              ;   in Loop: Header=BB1_591 Depth=2
	s_andn2_saveexec_b64 s[14:15], s[0:1]
	s_cbranch_execnz .LBB1_689
.LBB1_605:                              ;   in Loop: Header=BB1_591 Depth=2
	s_or_b64 exec, exec, s[14:15]
	s_and_saveexec_b64 s[0:1], s[12:13]
	s_cbranch_execz .LBB1_607
.LBB1_606:                              ;   in Loop: Header=BB1_591 Depth=2
	global_load_ubyte v8, v[8:9], off offset:4
	s_waitcnt vmcnt(0)
	v_xor_b32_e32 v8, v17, v8
	v_mul_lo_u32 v16, v8, s99
.LBB1_607:                              ;   in Loop: Header=BB1_591 Depth=2
	s_or_b64 exec, exec, s[0:1]
                                        ; implicit-def: $vgpr18
                                        ; implicit-def: $vgpr17
                                        ; implicit-def: $vgpr8_vgpr9
.LBB1_608:                              ;   in Loop: Header=BB1_591 Depth=2
	s_andn2_saveexec_b64 s[10:11], s[10:11]
	s_cbranch_execz .LBB1_677
; %bb.609:                              ;   in Loop: Header=BB1_591 Depth=2
	v_cmp_lt_i32_e64 s[0:1], 5, v15
	s_mov_b64 s[12:13], 0
                                        ; implicit-def: $vgpr16
	s_and_saveexec_b64 s[14:15], s[0:1]
	s_xor_b64 s[0:1], exec, s[14:15]
	s_cbranch_execnz .LBB1_690
; %bb.610:                              ;   in Loop: Header=BB1_591 Depth=2
	s_andn2_saveexec_b64 s[14:15], s[0:1]
	s_cbranch_execnz .LBB1_691
.LBB1_611:                              ;   in Loop: Header=BB1_591 Depth=2
	s_or_b64 exec, exec, s[14:15]
	v_mov_b32_e32 v8, 0
	s_and_saveexec_b64 s[0:1], s[12:13]
	s_cbranch_execz .LBB1_613
.LBB1_612:                              ;   in Loop: Header=BB1_591 Depth=2
	global_load_ubyte v6, v[6:7], off
	s_waitcnt vmcnt(0)
	v_or_b32_e32 v8, v16, v6
.LBB1_613:                              ;   in Loop: Header=BB1_591 Depth=2
	s_or_b64 exec, exec, s[0:1]
	v_lshrrev_b32_e32 v6, v18, v13
	v_lshlrev_b32_e32 v7, v17, v8
	v_bitop3_b32 v6, v7, v14, v6 bitop3:0x36
	v_mul_lo_u32 v16, v6, s99
	s_or_b64 exec, exec, s[10:11]
.LBB1_614:                              ;   in Loop: Header=BB1_591 Depth=2
	s_andn2_saveexec_b64 s[2:3], s[2:3]
	s_cbranch_execz .LBB1_622
.LBB1_615:                              ;   in Loop: Header=BB1_591 Depth=2
	s_mov_b64 s[10:11], 0
	v_mov_b32_e32 v8, v11
	v_mov_b64_e32 v[6:7], v[2:3]
	v_mov_b32_e32 v16, v10
.LBB1_616:                              ;   Parent Loop BB1_13 Depth=1
                                        ;     Parent Loop BB1_591 Depth=2
                                        ; =>    This Inner Loop Header: Depth=3
	global_load_dword v9, v[6:7], off
	v_add_u32_e32 v8, -4, v8
	v_mul_lo_u32 v13, v16, s99
	v_cmp_gt_u32_e64 s[0:1], 8, v8
	v_lshl_add_u64 v[6:7], v[6:7], 0, 4
	s_or_b64 s[10:11], s[0:1], s[10:11]
	s_waitcnt vmcnt(0)
	v_mul_lo_u32 v9, v9, s99
	v_xor_b32_sdwa v9, v9, v9 dst_sel:DWORD dst_unused:UNUSED_PAD src0_sel:BYTE_3 src1_sel:DWORD
	v_mul_lo_u32 v9, v9, s99
	v_xor_b32_e32 v16, v9, v13
	s_andn2_b64 exec, exec, s[10:11]
	s_cbranch_execnz .LBB1_616
; %bb.617:                              ;   in Loop: Header=BB1_591 Depth=2
	s_or_b64 exec, exec, s[10:11]
	v_cmp_lt_i32_e64 s[0:1], 5, v8
	s_mov_b64 s[10:11], 0
                                        ; implicit-def: $vgpr9
	s_and_saveexec_b64 s[12:13], s[0:1]
	s_xor_b64 s[12:13], exec, s[12:13]
	s_cbranch_execnz .LBB1_678
; %bb.618:                              ;   in Loop: Header=BB1_591 Depth=2
	s_andn2_saveexec_b64 s[12:13], s[12:13]
	s_cbranch_execnz .LBB1_681
.LBB1_619:                              ;   in Loop: Header=BB1_591 Depth=2
	s_or_b64 exec, exec, s[12:13]
	s_and_saveexec_b64 s[0:1], s[10:11]
	s_cbranch_execz .LBB1_621
.LBB1_620:                              ;   in Loop: Header=BB1_591 Depth=2
	global_load_ubyte v6, v[6:7], off
	s_waitcnt vmcnt(0)
	v_xor_b32_e32 v6, v9, v6
	v_mul_lo_u32 v16, v6, s99
.LBB1_621:                              ;   in Loop: Header=BB1_591 Depth=2
	s_or_b64 exec, exec, s[0:1]
.LBB1_622:                              ;   in Loop: Header=BB1_591 Depth=2
	s_or_b64 exec, exec, s[2:3]
	v_lshrrev_b32_e32 v6, 13, v16
	v_xor_b32_e32 v6, v6, v16
	v_mul_lo_u32 v6, v6, s99
	v_lshrrev_b32_e32 v7, 15, v6
	v_xor_b32_e32 v6, v7, v6
	v_mul_hi_u32 v7, v6, v103
	v_mul_lo_u32 v7, v7, s62
	v_sub_u32_e32 v6, v6, v7
	v_subrev_u32_e32 v7, s62, v6
	v_cmp_le_u32_e64 s[0:1], s62, v6
	s_mov_b64 s[12:13], -1
	s_nop 0
	v_cndmask_b32_e64 v6, v6, v7, s[0:1]
	v_subrev_u32_e32 v7, s62, v6
	v_cmp_le_u32_e64 s[0:1], s62, v6
	s_nop 1
	v_cndmask_b32_e64 v8, v6, v7, s[0:1]
	v_mad_u64_u32 v[6:7], s[0:1], v8, 24, v[70:71]
	global_load_dword v9, v[6:7], off offset:8
	s_waitcnt vmcnt(0)
	v_cmp_ne_u32_e64 s[0:1], -1, v9
	s_and_saveexec_b64 s[2:3], s[0:1]
	s_cbranch_execz .LBB1_634
; %bb.623:                              ;   in Loop: Header=BB1_591 Depth=2
	s_mov_b64 s[10:11], 0
                                        ; implicit-def: $sgpr12_sgpr13
	s_branch .LBB1_625
.LBB1_624:                              ;   in Loop: Header=BB1_625 Depth=3
	s_or_b64 exec, exec, s[18:19]
	s_xor_b64 s[0:1], s[14:15], -1
	s_and_b64 s[14:15], exec, s[16:17]
	s_or_b64 s[10:11], s[14:15], s[10:11]
	s_andn2_b64 s[12:13], s[12:13], exec
	s_and_b64 s[0:1], s[0:1], exec
	s_or_b64 s[12:13], s[12:13], s[0:1]
	s_andn2_b64 exec, exec, s[10:11]
	s_cbranch_execz .LBB1_633
.LBB1_625:                              ;   Parent Loop BB1_13 Depth=1
                                        ;     Parent Loop BB1_591 Depth=2
                                        ; =>    This Loop Header: Depth=3
                                        ;         Child Loop BB1_627 Depth 4
	global_load_dwordx2 v[6:7], v[6:7], off
	s_mov_b64 s[16:17], 0
	s_mov_b64 s[22:23], 0
                                        ; implicit-def: $sgpr14_sgpr15
                                        ; implicit-def: $sgpr20_sgpr21
                                        ; implicit-def: $sgpr18_sgpr19
	s_branch .LBB1_627
.LBB1_626:                              ;   in Loop: Header=BB1_627 Depth=4
	s_or_b64 exec, exec, s[24:25]
	s_xor_b64 s[0:1], s[18:19], -1
	s_and_b64 s[24:25], exec, s[20:21]
	s_or_b64 s[16:17], s[24:25], s[16:17]
	s_andn2_b64 s[14:15], s[14:15], exec
	s_and_b64 s[0:1], s[0:1], exec
	s_or_b64 s[14:15], s[14:15], s[0:1]
	s_andn2_b64 exec, exec, s[16:17]
	s_cbranch_execz .LBB1_629
.LBB1_627:                              ;   Parent Loop BB1_13 Depth=1
                                        ;     Parent Loop BB1_591 Depth=2
                                        ;       Parent Loop BB1_625 Depth=3
                                        ; =>      This Inner Loop Header: Depth=4
	s_waitcnt vmcnt(0)
	v_lshl_add_u64 v[14:15], v[6:7], 0, s[22:23]
	flat_load_ubyte v13, v[14:15]
	v_lshl_add_u64 v[14:15], v[2:3], 0, s[22:23]
	global_load_ubyte v14, v[14:15], off
	s_or_b64 s[18:19], s[18:19], exec
	s_or_b64 s[20:21], s[20:21], exec
	s_waitcnt vmcnt(0) lgkmcnt(0)
	v_cmp_eq_u16_e64 s[0:1], v13, v14
	s_and_saveexec_b64 s[24:25], s[0:1]
	s_cbranch_execz .LBB1_626
; %bb.628:                              ;   in Loop: Header=BB1_627 Depth=4
	s_add_u32 s22, s22, 1
	v_cmp_eq_u32_e64 s[0:1], s22, v4
	s_addc_u32 s23, s23, 0
	s_andn2_b64 s[20:21], s[20:21], exec
	s_and_b64 s[0:1], s[0:1], exec
	s_andn2_b64 s[18:19], s[18:19], exec
	s_or_b64 s[20:21], s[20:21], s[0:1]
	s_branch .LBB1_626
.LBB1_629:                              ;   in Loop: Header=BB1_625 Depth=3
	s_or_b64 exec, exec, s[16:17]
	s_mov_b64 s[16:17], -1
	s_mov_b64 s[0:1], -1
	s_and_saveexec_b64 s[18:19], s[14:15]
	s_xor_b64 s[14:15], exec, s[18:19]
; %bb.630:                              ;   in Loop: Header=BB1_625 Depth=3
	v_cmp_ne_u32_e64 s[0:1], v9, v4
	s_orn2_b64 s[0:1], s[0:1], exec
; %bb.631:                              ;   in Loop: Header=BB1_625 Depth=3
	s_or_b64 exec, exec, s[14:15]
	s_mov_b64 s[14:15], -1
                                        ; implicit-def: $vgpr6_vgpr7
                                        ; implicit-def: $vgpr9
	s_and_saveexec_b64 s[18:19], s[0:1]
	s_cbranch_execz .LBB1_624
; %bb.632:                              ;   in Loop: Header=BB1_625 Depth=3
	v_add_u32_e32 v6, 1, v8
	v_cmp_ne_u32_e64 s[0:1], s62, v6
	s_xor_b64 s[14:15], exec, -1
	s_nop 0
	v_cndmask_b32_e64 v8, 0, v6, s[0:1]
	v_mad_u64_u32 v[6:7], s[0:1], v8, 24, v[70:71]
	global_load_dword v9, v[6:7], off offset:8
	s_waitcnt vmcnt(0)
	v_cmp_eq_u32_e64 s[0:1], -1, v9
	s_orn2_b64 s[16:17], s[0:1], exec
	s_branch .LBB1_624
.LBB1_633:                              ;   in Loop: Header=BB1_591 Depth=2
	s_or_b64 exec, exec, s[10:11]
	s_orn2_b64 s[12:13], s[12:13], exec
.LBB1_634:                              ;   in Loop: Header=BB1_591 Depth=2
	s_or_b64 exec, exec, s[2:3]
	s_mov_b64 s[0:1], 0
	v_mov_b32_e32 v15, 0x52
	s_and_saveexec_b64 s[10:11], s[12:13]
	s_cbranch_execz .LBB1_590
; %bb.635:                              ;   in Loop: Header=BB1_591 Depth=2
	global_store_dwordx3 v[6:7], v[2:4], off
	global_store_byte v[6:7], v59, off offset:16
                                        ; implicit-def: $vgpr16
	s_and_saveexec_b64 s[0:1], vcc
	s_xor_b64 s[0:1], exec, s[0:1]
	s_cbranch_execz .LBB1_658
; %bb.636:                              ;   in Loop: Header=BB1_591 Depth=2
	v_cmp_gt_i32_e32 vcc, 3, v46
	v_mov_b32_e32 v8, 0
	s_and_saveexec_b64 s[2:3], vcc
	s_cbranch_execz .LBB1_640
; %bb.637:                              ;   in Loop: Header=BB1_591 Depth=2
	v_cmp_ne_u32_e32 vcc, 2, v46
	v_mov_b32_e32 v6, 0
	s_and_saveexec_b64 s[12:13], vcc
	s_cbranch_execz .LBB1_639
; %bb.638:                              ;   in Loop: Header=BB1_591 Depth=2
	global_load_ubyte v6, v[2:3], off offset:2
	s_waitcnt vmcnt(0)
	v_lshlrev_b32_e32 v6, 16, v6
.LBB1_639:                              ;   in Loop: Header=BB1_591 Depth=2
	s_or_b64 exec, exec, s[12:13]
	global_load_ubyte v7, v[2:3], off offset:1
	s_waitcnt vmcnt(0)
	v_lshl_or_b32 v8, v7, 8, v6
.LBB1_640:                              ;   in Loop: Header=BB1_591 Depth=2
	s_or_b64 exec, exec, s[2:3]
	global_load_ubyte v9, v[2:3], off
	v_lshlrev_b32_e32 v18, 3, v46
	v_sub_u32_e32 v16, 4, v46
	v_mov_b32_e32 v17, v47
	v_add_u32_e32 v15, v4, v46
	s_mov_b64 s[2:3], 0
	v_lshl_add_u64 v[6:7], v[2:3], 0, v[16:17]
	v_lshlrev_b32_e32 v17, 3, v16
	v_mov_b32_e32 v14, v10
	s_waitcnt vmcnt(0)
	v_or_b32_e32 v8, v8, v9
	v_lshlrev_b32_e32 v8, v18, v8
.LBB1_641:                              ;   Parent Loop BB1_13 Depth=1
                                        ;     Parent Loop BB1_591 Depth=2
                                        ; =>    This Inner Loop Header: Depth=3
	global_load_dword v13, v[6:7], off
	v_lshrrev_b32_e32 v8, v18, v8
	v_mul_lo_u32 v9, v14, s99
	v_add_u32_e32 v15, -4, v15
	v_cmp_gt_u32_e32 vcc, 8, v15
	v_lshl_add_u64 v[6:7], v[6:7], 0, 4
	s_or_b64 s[2:3], vcc, s[2:3]
	s_waitcnt vmcnt(0)
	v_lshl_or_b32 v14, v13, v17, v8
	v_mul_lo_u32 v14, v14, s99
	v_xor_b32_sdwa v14, v14, v14 dst_sel:DWORD dst_unused:UNUSED_PAD src0_sel:BYTE_3 src1_sel:DWORD
	v_mul_lo_u32 v14, v14, s99
	v_mov_b32_e32 v8, v13
	v_xor_b32_e32 v14, v14, v9
	s_andn2_b64 exec, exec, s[2:3]
	s_cbranch_execnz .LBB1_641
; %bb.642:                              ;   in Loop: Header=BB1_591 Depth=2
	s_or_b64 exec, exec, s[2:3]
	v_add_u32_e32 v19, -4, v15
	v_lshl_add_u64 v[8:9], v[6:7], 0, -4
	v_cmp_ge_u32_e32 vcc, v19, v46
                                        ; implicit-def: $vgpr16
	s_and_saveexec_b64 s[2:3], vcc
	s_xor_b64 s[2:3], exec, s[2:3]
	s_cbranch_execz .LBB1_652
; %bb.643:                              ;   in Loop: Header=BB1_591 Depth=2
	v_cmp_lt_i32_e32 vcc, 2, v46
	s_mov_b64 s[12:13], 0
                                        ; implicit-def: $vgpr16
	s_and_saveexec_b64 s[14:15], vcc
	s_xor_b64 s[14:15], exec, s[14:15]
	s_cbranch_execnz .LBB1_697
; %bb.644:                              ;   in Loop: Header=BB1_591 Depth=2
	s_andn2_saveexec_b64 s[14:15], s[14:15]
	s_cbranch_execnz .LBB1_698
.LBB1_645:                              ;   in Loop: Header=BB1_591 Depth=2
	s_or_b64 exec, exec, s[14:15]
	v_mov_b32_e32 v20, 0
	s_and_saveexec_b64 s[14:15], s[12:13]
	s_cbranch_execz .LBB1_647
.LBB1_646:                              ;   in Loop: Header=BB1_591 Depth=2
	global_load_ubyte v20, v[8:9], off offset:5
	s_waitcnt vmcnt(0)
	v_lshl_or_b32 v20, v20, 8, v16
.LBB1_647:                              ;   in Loop: Header=BB1_591 Depth=2
	s_or_b64 exec, exec, s[14:15]
	global_load_ubyte v16, v[6:7], off
	v_lshrrev_b32_e32 v21, v18, v13
	v_mul_lo_u32 v22, v14, s99
	v_sub_u32_e32 v18, v19, v46
	v_lshl_add_u64 v[8:9], v[8:9], 0, v[46:47]
	v_cmp_lt_i32_e32 vcc, 1, v18
	s_mov_b64 s[12:13], 0
	s_waitcnt vmcnt(0)
	v_or_b32_e32 v16, v20, v16
	v_lshl_or_b32 v16, v16, v17, v21
	v_mul_lo_u32 v16, v16, s99
	v_xor_b32_sdwa v16, v16, v16 dst_sel:DWORD dst_unused:UNUSED_PAD src0_sel:BYTE_3 src1_sel:DWORD
	v_mul_lo_u32 v16, v16, s99
	v_xor_b32_e32 v16, v16, v22
                                        ; implicit-def: $vgpr17
	s_and_saveexec_b64 s[14:15], vcc
	s_xor_b64 s[14:15], exec, s[14:15]
	s_cbranch_execnz .LBB1_699
; %bb.648:                              ;   in Loop: Header=BB1_591 Depth=2
	s_andn2_saveexec_b64 s[14:15], s[14:15]
	s_cbranch_execnz .LBB1_702
.LBB1_649:                              ;   in Loop: Header=BB1_591 Depth=2
	s_or_b64 exec, exec, s[14:15]
	s_and_saveexec_b64 s[14:15], s[12:13]
	s_cbranch_execz .LBB1_651
.LBB1_650:                              ;   in Loop: Header=BB1_591 Depth=2
	global_load_ubyte v8, v[8:9], off offset:4
	s_waitcnt vmcnt(0)
	v_xor_b32_e32 v8, v17, v8
	v_mul_lo_u32 v16, v8, s99
.LBB1_651:                              ;   in Loop: Header=BB1_591 Depth=2
	s_or_b64 exec, exec, s[14:15]
                                        ; implicit-def: $vgpr18
                                        ; implicit-def: $vgpr17
                                        ; implicit-def: $vgpr8_vgpr9
.LBB1_652:                              ;   in Loop: Header=BB1_591 Depth=2
	s_andn2_saveexec_b64 s[2:3], s[2:3]
	s_cbranch_execz .LBB1_692
; %bb.653:                              ;   in Loop: Header=BB1_591 Depth=2
	v_cmp_lt_i32_e32 vcc, 5, v15
	s_mov_b64 s[12:13], 0
                                        ; implicit-def: $vgpr16
	s_and_saveexec_b64 s[14:15], vcc
	s_xor_b64 s[14:15], exec, s[14:15]
	s_cbranch_execnz .LBB1_703
; %bb.654:                              ;   in Loop: Header=BB1_591 Depth=2
	s_andn2_saveexec_b64 s[14:15], s[14:15]
	s_cbranch_execnz .LBB1_704
.LBB1_655:                              ;   in Loop: Header=BB1_591 Depth=2
	s_or_b64 exec, exec, s[14:15]
	v_mov_b32_e32 v8, 0
	s_and_saveexec_b64 s[14:15], s[12:13]
	s_cbranch_execz .LBB1_657
.LBB1_656:                              ;   in Loop: Header=BB1_591 Depth=2
	global_load_ubyte v6, v[6:7], off
	s_waitcnt vmcnt(0)
	v_or_b32_e32 v8, v16, v6
.LBB1_657:                              ;   in Loop: Header=BB1_591 Depth=2
	s_or_b64 exec, exec, s[14:15]
	v_lshrrev_b32_e32 v6, v18, v13
	v_lshlrev_b32_e32 v7, v17, v8
	v_bitop3_b32 v6, v7, v14, v6 bitop3:0x36
	v_mul_lo_u32 v16, v6, s99
	s_or_b64 exec, exec, s[2:3]
.LBB1_658:                              ;   in Loop: Header=BB1_591 Depth=2
	s_andn2_saveexec_b64 s[0:1], s[0:1]
	s_cbranch_execz .LBB1_666
.LBB1_659:                              ;   in Loop: Header=BB1_591 Depth=2
	s_mov_b64 s[2:3], 0
	v_mov_b32_e32 v8, v11
	v_mov_b64_e32 v[6:7], v[2:3]
	v_mov_b32_e32 v16, v10
.LBB1_660:                              ;   Parent Loop BB1_13 Depth=1
                                        ;     Parent Loop BB1_591 Depth=2
                                        ; =>    This Inner Loop Header: Depth=3
	global_load_dword v9, v[6:7], off
	v_add_u32_e32 v8, -4, v8
	v_mul_lo_u32 v13, v16, s99
	v_cmp_gt_u32_e32 vcc, 8, v8
	v_lshl_add_u64 v[6:7], v[6:7], 0, 4
	s_or_b64 s[2:3], vcc, s[2:3]
	s_waitcnt vmcnt(0)
	v_mul_lo_u32 v9, v9, s99
	v_xor_b32_sdwa v9, v9, v9 dst_sel:DWORD dst_unused:UNUSED_PAD src0_sel:BYTE_3 src1_sel:DWORD
	v_mul_lo_u32 v9, v9, s99
	v_xor_b32_e32 v16, v9, v13
	s_andn2_b64 exec, exec, s[2:3]
	s_cbranch_execnz .LBB1_660
; %bb.661:                              ;   in Loop: Header=BB1_591 Depth=2
	s_or_b64 exec, exec, s[2:3]
	v_cmp_lt_i32_e32 vcc, 5, v8
	s_mov_b64 s[2:3], 0
                                        ; implicit-def: $vgpr9
	s_and_saveexec_b64 s[12:13], vcc
	s_xor_b64 s[12:13], exec, s[12:13]
	s_cbranch_execnz .LBB1_693
; %bb.662:                              ;   in Loop: Header=BB1_591 Depth=2
	s_andn2_saveexec_b64 s[12:13], s[12:13]
	s_cbranch_execnz .LBB1_696
.LBB1_663:                              ;   in Loop: Header=BB1_591 Depth=2
	s_or_b64 exec, exec, s[12:13]
	s_and_saveexec_b64 s[12:13], s[2:3]
	s_cbranch_execz .LBB1_665
.LBB1_664:                              ;   in Loop: Header=BB1_591 Depth=2
	global_load_ubyte v6, v[6:7], off
	s_waitcnt vmcnt(0)
	v_xor_b32_e32 v6, v9, v6
	v_mul_lo_u32 v16, v6, s99
.LBB1_665:                              ;   in Loop: Header=BB1_591 Depth=2
	s_or_b64 exec, exec, s[12:13]
.LBB1_666:                              ;   in Loop: Header=BB1_591 Depth=2
	s_or_b64 exec, exec, s[0:1]
	v_lshrrev_b32_e32 v6, 13, v16
	v_xor_b32_e32 v6, v6, v16
	v_mul_lo_u32 v6, v6, s99
	v_lshrrev_b32_e32 v7, 15, v6
	v_xor_b32_e32 v6, v7, v6
	v_mul_hi_u32 v7, v6, v90
	v_mul_lo_u32 v7, v7, v42
	v_sub_u32_e32 v6, v6, v7
	v_sub_u32_e32 v7, v6, v42
	v_cmp_ge_u32_e32 vcc, v6, v42
	v_mov_b32_e32 v15, 0x58
	s_nop 0
	v_cndmask_b32_e32 v6, v6, v7, vcc
	v_sub_u32_e32 v7, v6, v42
	v_cmp_ge_u32_e32 vcc, v6, v42
	s_nop 1
	v_cndmask_b32_e32 v13, v6, v7, vcc
	v_mad_u64_u32 v[8:9], s[0:1], v13, 56, v[40:41]
	global_load_dword v14, v[8:9], off offset:8
	s_mov_b64 s[0:1], 0
	s_waitcnt vmcnt(0)
	v_cmp_ne_u32_e32 vcc, -1, v14
	s_and_saveexec_b64 s[12:13], vcc
	s_cbranch_execz .LBB1_589
; %bb.667:                              ;   in Loop: Header=BB1_591 Depth=2
	s_mov_b64 s[2:3], 0
                                        ; implicit-def: $sgpr0_sgpr1
                                        ; implicit-def: $sgpr14_sgpr15
	s_branch .LBB1_669
.LBB1_668:                              ;   in Loop: Header=BB1_669 Depth=3
	s_or_b64 exec, exec, s[16:17]
	s_and_b64 s[16:17], exec, s[18:19]
	s_or_b64 s[2:3], s[16:17], s[2:3]
	s_andn2_b64 s[0:1], s[0:1], exec
	s_and_b64 s[16:17], s[14:15], exec
	s_or_b64 s[0:1], s[0:1], s[16:17]
	s_andn2_b64 exec, exec, s[2:3]
	s_cbranch_execz .LBB1_682
.LBB1_669:                              ;   Parent Loop BB1_13 Depth=1
                                        ;     Parent Loop BB1_591 Depth=2
                                        ; =>    This Loop Header: Depth=3
                                        ;         Child Loop BB1_671 Depth 4
	v_mov_b64_e32 v[6:7], v[8:9]
	global_load_dwordx2 v[8:9], v[8:9], off
	s_mov_b64 s[18:19], 0
	s_mov_b64 s[24:25], 0
                                        ; implicit-def: $sgpr16_sgpr17
                                        ; implicit-def: $sgpr22_sgpr23
                                        ; implicit-def: $sgpr20_sgpr21
	s_branch .LBB1_671
.LBB1_670:                              ;   in Loop: Header=BB1_671 Depth=4
	s_or_b64 exec, exec, s[26:27]
	s_xor_b64 s[26:27], s[20:21], -1
	s_and_b64 s[30:31], exec, s[22:23]
	s_or_b64 s[18:19], s[30:31], s[18:19]
	s_andn2_b64 s[16:17], s[16:17], exec
	s_and_b64 s[26:27], s[26:27], exec
	s_or_b64 s[16:17], s[16:17], s[26:27]
	s_andn2_b64 exec, exec, s[18:19]
	s_cbranch_execz .LBB1_673
.LBB1_671:                              ;   Parent Loop BB1_13 Depth=1
                                        ;     Parent Loop BB1_591 Depth=2
                                        ;       Parent Loop BB1_669 Depth=3
                                        ; =>      This Inner Loop Header: Depth=4
	s_waitcnt vmcnt(0)
	v_lshl_add_u64 v[16:17], v[8:9], 0, s[24:25]
	flat_load_ubyte v15, v[16:17]
	v_lshl_add_u64 v[16:17], v[2:3], 0, s[24:25]
	global_load_ubyte v16, v[16:17], off
	s_or_b64 s[20:21], s[20:21], exec
	s_or_b64 s[22:23], s[22:23], exec
	s_waitcnt vmcnt(0) lgkmcnt(0)
	v_cmp_eq_u16_e32 vcc, v15, v16
	s_and_saveexec_b64 s[26:27], vcc
	s_cbranch_execz .LBB1_670
; %bb.672:                              ;   in Loop: Header=BB1_671 Depth=4
	s_add_u32 s24, s24, 1
	v_cmp_eq_u32_e32 vcc, s24, v4
	s_addc_u32 s25, s25, 0
	s_andn2_b64 s[22:23], s[22:23], exec
	s_and_b64 s[30:31], vcc, exec
	s_andn2_b64 s[20:21], s[20:21], exec
	s_or_b64 s[22:23], s[22:23], s[30:31]
	s_branch .LBB1_670
.LBB1_673:                              ;   in Loop: Header=BB1_669 Depth=3
	s_or_b64 exec, exec, s[18:19]
	s_mov_b64 s[18:19], -1
	s_mov_b64 s[20:21], -1
	s_and_saveexec_b64 s[22:23], s[16:17]
	s_xor_b64 s[16:17], exec, s[22:23]
; %bb.674:                              ;   in Loop: Header=BB1_669 Depth=3
	v_cmp_ne_u32_e32 vcc, v14, v4
	s_orn2_b64 s[20:21], vcc, exec
; %bb.675:                              ;   in Loop: Header=BB1_669 Depth=3
	s_or_b64 exec, exec, s[16:17]
	s_or_b64 s[14:15], s[14:15], exec
                                        ; implicit-def: $vgpr8_vgpr9
                                        ; implicit-def: $vgpr14
	s_and_saveexec_b64 s[16:17], s[20:21]
	s_cbranch_execz .LBB1_668
; %bb.676:                              ;   in Loop: Header=BB1_669 Depth=3
	v_add_u32_e32 v8, 1, v13
	v_cmp_ne_u32_e32 vcc, v8, v42
	s_andn2_b64 s[14:15], s[14:15], exec
	s_nop 0
	v_cndmask_b32_e32 v13, 0, v8, vcc
	v_mad_u64_u32 v[8:9], s[18:19], v13, 56, v[40:41]
	global_load_dword v14, v[8:9], off offset:8
	s_waitcnt vmcnt(0)
	v_cmp_eq_u32_e32 vcc, -1, v14
	s_orn2_b64 s[18:19], vcc, exec
	s_branch .LBB1_668
.LBB1_677:                              ;   in Loop: Header=BB1_591 Depth=2
	s_or_b64 exec, exec, s[10:11]
	s_andn2_saveexec_b64 s[2:3], s[2:3]
	s_cbranch_execnz .LBB1_615
	s_branch .LBB1_622
.LBB1_678:                              ;   in Loop: Header=BB1_591 Depth=2
	v_cmp_lt_i32_e64 s[0:1], 6, v8
	v_mov_b32_e32 v9, v16
	s_and_saveexec_b64 s[10:11], s[0:1]
	s_cbranch_execz .LBB1_680
; %bb.679:                              ;   in Loop: Header=BB1_591 Depth=2
	global_load_ubyte v9, v[6:7], off offset:2
	s_waitcnt vmcnt(0)
	v_lshlrev_b32_e32 v9, 16, v9
	v_xor_b32_e32 v9, v9, v16
.LBB1_680:                              ;   in Loop: Header=BB1_591 Depth=2
	s_or_b64 exec, exec, s[10:11]
	global_load_ubyte v13, v[6:7], off offset:1
	s_mov_b64 s[10:11], exec
	s_waitcnt vmcnt(0)
	v_lshlrev_b32_e32 v13, 8, v13
	v_xor_b32_e32 v9, v13, v9
	s_andn2_saveexec_b64 s[12:13], s[12:13]
	s_cbranch_execz .LBB1_619
.LBB1_681:                              ;   in Loop: Header=BB1_591 Depth=2
	v_cmp_eq_u32_e64 s[0:1], 5, v8
	s_andn2_b64 s[10:11], s[10:11], exec
	s_and_b64 s[0:1], s[0:1], exec
	s_or_b64 s[10:11], s[10:11], s[0:1]
	v_mov_b32_e32 v9, v16
	s_or_b64 exec, exec, s[12:13]
	s_and_saveexec_b64 s[0:1], s[10:11]
	s_cbranch_execnz .LBB1_620
	s_branch .LBB1_621
.LBB1_682:                              ;   in Loop: Header=BB1_591 Depth=2
	s_or_b64 exec, exec, s[2:3]
	s_mov_b64 s[2:3], 0
	v_mov_b32_e32 v15, 0x58
	s_and_saveexec_b64 s[14:15], s[0:1]
	s_xor_b64 s[14:15], exec, s[14:15]
	s_cbranch_execz .LBB1_588
; %bb.683:                              ;   in Loop: Header=BB1_591 Depth=2
	global_load_ubyte v15, v[6:7], off offset:48
	s_mov_b64 s[16:17], 0
	s_waitcnt vmcnt(0)
	v_cmp_ne_u16_e32 vcc, s92, v15
	v_cmp_ne_u16_e64 s[0:1], s64, v15
	v_cmp_lt_i16_e64 s[2:3], s65, v15
	s_and_saveexec_b64 s[18:19], s[2:3]
	s_xor_b64 s[2:3], exec, s[18:19]
	s_cbranch_execnz .LBB1_705
; %bb.684:                              ;   in Loop: Header=BB1_591 Depth=2
	s_andn2_saveexec_b64 s[2:3], s[2:3]
	s_cbranch_execnz .LBB1_706
.LBB1_685:                              ;   in Loop: Header=BB1_591 Depth=2
	s_or_b64 exec, exec, s[2:3]
	s_and_saveexec_b64 s[18:19], s[16:17]
	s_cbranch_execz .LBB1_587
	s_branch .LBB1_707
.LBB1_686:                              ;   in Loop: Header=BB1_591 Depth=2
	global_load_ubyte v16, v[8:9], off offset:6
	s_mov_b64 s[12:13], exec
	s_waitcnt vmcnt(0)
	v_lshlrev_b32_e32 v16, 16, v16
	s_andn2_saveexec_b64 s[14:15], s[0:1]
	s_cbranch_execz .LBB1_601
.LBB1_687:                              ;   in Loop: Header=BB1_591 Depth=2
	v_cmp_eq_u32_e64 s[0:1], 2, v46
	s_andn2_b64 s[12:13], s[12:13], exec
	s_and_b64 s[0:1], s[0:1], exec
	v_mov_b32_e32 v16, 0
	s_or_b64 s[12:13], s[12:13], s[0:1]
	s_or_b64 exec, exec, s[14:15]
	v_mov_b32_e32 v20, 0
	s_and_saveexec_b64 s[0:1], s[12:13]
	s_cbranch_execnz .LBB1_602
	s_branch .LBB1_603
.LBB1_688:                              ;   in Loop: Header=BB1_591 Depth=2
	global_load_ubyte v17, v[8:9], off offset:5
	s_mov_b64 s[12:13], exec
                                        ; implicit-def: $vgpr18
	s_waitcnt vmcnt(0)
	v_lshlrev_b32_e32 v17, 8, v17
	v_xor_b32_e32 v17, v17, v16
	s_andn2_saveexec_b64 s[14:15], s[0:1]
	s_cbranch_execz .LBB1_605
.LBB1_689:                              ;   in Loop: Header=BB1_591 Depth=2
	v_cmp_eq_u32_e64 s[0:1], 1, v18
	s_andn2_b64 s[12:13], s[12:13], exec
	s_and_b64 s[0:1], s[0:1], exec
	s_or_b64 s[12:13], s[12:13], s[0:1]
	v_mov_b32_e32 v17, v16
	s_or_b64 exec, exec, s[14:15]
	s_and_saveexec_b64 s[0:1], s[12:13]
	s_cbranch_execnz .LBB1_606
	s_branch .LBB1_607
.LBB1_690:                              ;   in Loop: Header=BB1_591 Depth=2
	global_load_ubyte v8, v[8:9], off offset:5
	s_mov_b64 s[12:13], exec
	s_waitcnt vmcnt(0)
	v_lshlrev_b32_e32 v16, 8, v8
	s_andn2_saveexec_b64 s[14:15], s[0:1]
	s_cbranch_execz .LBB1_611
.LBB1_691:                              ;   in Loop: Header=BB1_591 Depth=2
	v_cmp_eq_u32_e64 s[0:1], 5, v15
	s_andn2_b64 s[12:13], s[12:13], exec
	s_and_b64 s[0:1], s[0:1], exec
	v_mov_b32_e32 v16, 0
	s_or_b64 s[12:13], s[12:13], s[0:1]
	s_or_b64 exec, exec, s[14:15]
	v_mov_b32_e32 v8, 0
	s_and_saveexec_b64 s[0:1], s[12:13]
	s_cbranch_execnz .LBB1_612
	s_branch .LBB1_613
.LBB1_692:                              ;   in Loop: Header=BB1_591 Depth=2
	s_or_b64 exec, exec, s[2:3]
	s_andn2_saveexec_b64 s[0:1], s[0:1]
	s_cbranch_execnz .LBB1_659
	s_branch .LBB1_666
.LBB1_693:                              ;   in Loop: Header=BB1_591 Depth=2
	v_cmp_lt_i32_e32 vcc, 6, v8
	v_mov_b32_e32 v9, v16
	s_and_saveexec_b64 s[2:3], vcc
	s_cbranch_execz .LBB1_695
; %bb.694:                              ;   in Loop: Header=BB1_591 Depth=2
	global_load_ubyte v9, v[6:7], off offset:2
	s_waitcnt vmcnt(0)
	v_lshlrev_b32_e32 v9, 16, v9
	v_xor_b32_e32 v9, v9, v16
.LBB1_695:                              ;   in Loop: Header=BB1_591 Depth=2
	s_or_b64 exec, exec, s[2:3]
	global_load_ubyte v13, v[6:7], off offset:1
	s_mov_b64 s[2:3], exec
	s_waitcnt vmcnt(0)
	v_lshlrev_b32_e32 v13, 8, v13
	v_xor_b32_e32 v9, v13, v9
	s_andn2_saveexec_b64 s[12:13], s[12:13]
	s_cbranch_execz .LBB1_663
.LBB1_696:                              ;   in Loop: Header=BB1_591 Depth=2
	v_cmp_eq_u32_e32 vcc, 5, v8
	s_andn2_b64 s[2:3], s[2:3], exec
	s_and_b64 s[14:15], vcc, exec
	s_or_b64 s[2:3], s[2:3], s[14:15]
	v_mov_b32_e32 v9, v16
	s_or_b64 exec, exec, s[12:13]
	s_and_saveexec_b64 s[12:13], s[2:3]
	s_cbranch_execnz .LBB1_664
	s_branch .LBB1_665
.LBB1_697:                              ;   in Loop: Header=BB1_591 Depth=2
	global_load_ubyte v16, v[8:9], off offset:6
	s_mov_b64 s[12:13], exec
	s_waitcnt vmcnt(0)
	v_lshlrev_b32_e32 v16, 16, v16
	s_andn2_saveexec_b64 s[14:15], s[14:15]
	s_cbranch_execz .LBB1_645
.LBB1_698:                              ;   in Loop: Header=BB1_591 Depth=2
	v_cmp_eq_u32_e32 vcc, 2, v46
	s_andn2_b64 s[12:13], s[12:13], exec
	s_and_b64 s[16:17], vcc, exec
	v_mov_b32_e32 v16, 0
	s_or_b64 s[12:13], s[12:13], s[16:17]
	s_or_b64 exec, exec, s[14:15]
	v_mov_b32_e32 v20, 0
	s_and_saveexec_b64 s[14:15], s[12:13]
	s_cbranch_execnz .LBB1_646
	s_branch .LBB1_647
.LBB1_699:                              ;   in Loop: Header=BB1_591 Depth=2
	v_cmp_eq_u32_e32 vcc, 2, v18
                                        ; implicit-def: $vgpr17
	s_and_saveexec_b64 s[16:17], vcc
	s_cbranch_execz .LBB1_701
; %bb.700:                              ;   in Loop: Header=BB1_591 Depth=2
	global_load_ubyte v17, v[8:9], off offset:5
	s_mov_b64 s[12:13], exec
	s_waitcnt vmcnt(0)
	v_lshlrev_b32_e32 v17, 8, v17
	v_xor_b32_e32 v17, v17, v16
.LBB1_701:                              ;   in Loop: Header=BB1_591 Depth=2
	s_or_b64 exec, exec, s[16:17]
	s_and_b64 s[12:13], s[12:13], exec
                                        ; implicit-def: $vgpr18
	s_andn2_saveexec_b64 s[14:15], s[14:15]
	s_cbranch_execz .LBB1_649
.LBB1_702:                              ;   in Loop: Header=BB1_591 Depth=2
	v_cmp_eq_u32_e32 vcc, 1, v18
	s_andn2_b64 s[12:13], s[12:13], exec
	s_and_b64 s[16:17], vcc, exec
	s_or_b64 s[12:13], s[12:13], s[16:17]
	v_mov_b32_e32 v17, v16
	s_or_b64 exec, exec, s[14:15]
	s_and_saveexec_b64 s[14:15], s[12:13]
	s_cbranch_execnz .LBB1_650
	s_branch .LBB1_651
.LBB1_703:                              ;   in Loop: Header=BB1_591 Depth=2
	global_load_ubyte v8, v[8:9], off offset:5
	s_mov_b64 s[12:13], exec
	s_waitcnt vmcnt(0)
	v_lshlrev_b32_e32 v16, 8, v8
	s_andn2_saveexec_b64 s[14:15], s[14:15]
	s_cbranch_execz .LBB1_655
.LBB1_704:                              ;   in Loop: Header=BB1_591 Depth=2
	v_cmp_eq_u32_e32 vcc, 5, v15
	s_andn2_b64 s[12:13], s[12:13], exec
	s_and_b64 s[16:17], vcc, exec
	v_mov_b32_e32 v16, 0
	s_or_b64 s[12:13], s[12:13], s[16:17]
	s_or_b64 exec, exec, s[14:15]
	v_mov_b32_e32 v8, 0
	s_and_saveexec_b64 s[14:15], s[12:13]
	s_cbranch_execnz .LBB1_656
	s_branch .LBB1_657
.LBB1_705:                              ;   in Loop: Header=BB1_591 Depth=2
	s_and_b64 s[16:17], s[0:1], exec
	s_andn2_saveexec_b64 s[2:3], s[2:3]
	s_cbranch_execz .LBB1_685
.LBB1_706:                              ;   in Loop: Header=BB1_591 Depth=2
	s_andn2_b64 s[16:17], s[16:17], exec
	s_and_b64 s[18:19], vcc, exec
	s_or_b64 s[16:17], s[16:17], s[18:19]
	s_or_b64 exec, exec, s[2:3]
	s_and_saveexec_b64 s[18:19], s[16:17]
	s_cbranch_execz .LBB1_587
.LBB1_707:                              ;   in Loop: Header=BB1_591 Depth=2
	v_lshl_add_u64 v[6:7], v[2:3], 0, 1
	v_lshl_add_u64 v[2:3], v[2:3], 0, v[0:1]
	v_cmp_ne_u16_e64 s[2:3], 0, v15
	global_store_byte v[2:3], v15, off
	v_mov_b32_e32 v15, v12
	v_addc_co_u32_e64 v5, s[2:3], 0, v5, s[2:3]
	v_mov_b64_e32 v[2:3], v[6:7]
	s_branch .LBB1_587
.LBB1_708:                              ;   in Loop: Header=BB1_13 Depth=1
	s_or_b64 exec, exec, s[8:9]
	v_cmp_eq_u16_sdwa s[0:1], v15, s64 src0_sel:BYTE_0 src1_sel:DWORD
	v_cmp_gt_i32_e32 vcc, v5, v112
	s_and_saveexec_b64 s[2:3], vcc
	s_cbranch_execnz .LBB1_710
	s_branch .LBB1_714
.LBB1_709:                              ;   in Loop: Header=BB1_13 Depth=1
	v_mov_b32_e32 v5, 0
	s_mov_b64 s[0:1], -1
	v_cmp_gt_i32_e32 vcc, v5, v112
	s_and_saveexec_b64 s[2:3], vcc
	s_cbranch_execz .LBB1_714
.LBB1_710:                              ;   in Loop: Header=BB1_13 Depth=1
	v_cmp_lt_i32_e32 vcc, 0, v5
	s_and_saveexec_b64 s[8:9], vcc
	s_cbranch_execz .LBB1_713
; %bb.711:                              ;   in Loop: Header=BB1_13 Depth=1
	v_lshl_add_u64 v[0:1], v[76:77], 0, v[0:1]
	s_mov_b64 s[10:11], 0
	s_mov_b64 s[12:13], 0
.LBB1_712:                              ;   Parent Loop BB1_13 Depth=1
                                        ; =>  This Inner Loop Header: Depth=2
	v_lshl_add_u64 v[2:3], v[0:1], 0, s[12:13]
	global_load_ubyte v6, v[2:3], off
	v_lshl_add_u64 v[2:3], v[72:73], 0, s[12:13]
	s_add_u32 s12, s12, 1
	s_addc_u32 s13, s13, 0
	v_cmp_eq_u32_e32 vcc, s12, v5
	s_or_b64 s[10:11], vcc, s[10:11]
	s_waitcnt vmcnt(0)
	global_store_byte v[2:3], v6, off
	s_andn2_b64 exec, exec, s[10:11]
	s_cbranch_execnz .LBB1_712
.LBB1_713:                              ;   in Loop: Header=BB1_13 Depth=1
	s_or_b64 exec, exec, s[8:9]
	v_mov_b32_e32 v112, v5
.LBB1_714:                              ;   in Loop: Header=BB1_13 Depth=1
	s_or_b64 exec, exec, s[2:3]
	s_xor_b64 s[2:3], s[0:1], -1
	s_mov_b64 s[0:1], 0
	s_and_saveexec_b64 s[8:9], s[2:3]
	s_xor_b64 s[2:3], exec, s[8:9]
; %bb.715:                              ;   in Loop: Header=BB1_13 Depth=1
	v_cmp_ne_u32_e32 vcc, -8, v110
	s_and_b64 s[0:1], vcc, exec
                                        ; implicit-def: $vgpr110
; %bb.716:                              ;   in Loop: Header=BB1_13 Depth=1
	s_or_saveexec_b64 s[2:3], s[2:3]
	v_mov_b32_e32 v3, -8
	v_mov_b32_e32 v1, 8
	s_xor_b64 exec, exec, s[2:3]
; %bb.717:                              ;   in Loop: Header=BB1_13 Depth=1
	v_cmp_ne_u32_e32 vcc, 8, v110
	s_andn2_b64 s[0:1], s[0:1], exec
	s_and_b64 s[8:9], vcc, exec
	v_mov_b32_e32 v3, 8
	v_mov_b32_e32 v1, -8
	s_or_b64 s[0:1], s[0:1], s[8:9]
; %bb.718:                              ;   in Loop: Header=BB1_13 Depth=1
	s_or_b64 exec, exec, s[2:3]
	v_mov_b32_e32 v2, 11
	v_mov_b32_e32 v0, 0
	;; [unrolled: 1-line block ×3, first 2 shown]
	s_and_saveexec_b64 s[2:3], s[0:1]
; %bb.719:                              ;   in Loop: Header=BB1_13 Depth=1
	v_mov_b32_e32 v2, 0
	v_mov_b32_e32 v0, v111
	;; [unrolled: 1-line block ×3, first 2 shown]
; %bb.720:                              ;   in Loop: Header=BB1_13 Depth=1
	s_or_b64 exec, exec, s[2:3]
	v_cmp_gt_i32_e32 vcc, 11, v2
	s_mov_b64 s[0:1], -1
	s_and_saveexec_b64 s[2:3], vcc
; %bb.721:                              ;   in Loop: Header=BB1_13 Depth=1
	v_cmp_eq_u32_e32 vcc, 0, v2
	s_orn2_b64 s[0:1], vcc, exec
; %bb.722:                              ;   in Loop: Header=BB1_13 Depth=1
	s_or_b64 exec, exec, s[2:3]
	s_orn2_b64 s[0:1], s[0:1], exec
	v_mov_b32_e32 v111, v0
.LBB1_723:                              ;   in Loop: Header=BB1_13 Depth=1
	s_or_b64 exec, exec, s[6:7]
	s_and_saveexec_b64 s[2:3], s[0:1]
	s_cbranch_execz .LBB1_12
; %bb.724:                              ;   in Loop: Header=BB1_13 Depth=1
	v_lshlrev_b32_e32 v0, 2, v105
	v_and_b32_e32 v0, 0x100, v0
	ds_bpermute_b32 v111, v0, v111
	s_mov_b64 s[0:1], -1
	s_waitcnt lgkmcnt(0)
	v_cmp_ne_u32_e32 vcc, 0, v111
	s_and_saveexec_b64 s[4:5], vcc
	s_cbranch_execz .LBB1_11
; %bb.725:                              ;   in Loop: Header=BB1_13 Depth=1
	ds_bpermute_b32 v110, v0, v110
	s_waitcnt lgkmcnt(0)
	v_add_u32_e32 v4, v110, v4
	v_cmp_gt_i32_e32 vcc, 21, v4
	v_cmp_gt_i32_e64 s[0:1], v4, v91
	s_or_b64 s[0:1], vcc, s[0:1]
	s_orn2_b64 s[0:1], s[0:1], exec
	s_branch .LBB1_11
.LBB1_726:
	s_or_b64 exec, exec, s[68:69]
	v_readlane_b32 s18, v114, 2
	v_max_i32_e32 v4, 0, v112
	v_readlane_b32 s19, v114, 3
.LBB1_727:
	v_readlane_b32 s0, v114, 0
	v_readlane_b32 s1, v114, 1
	s_or_b64 exec, exec, s[0:1]
	v_cmp_eq_u32_e32 vcc, 0, v78
	s_and_b64 exec, exec, vcc
	s_cbranch_execz .LBB1_729
; %bb.728:
	global_store_dword v64, v4, s[18:19]
.LBB1_729:
	s_endpgm
	.section	.rodata,"a",@progbits
	.p2align	6, 0x0
	.amdhsa_kernel _Z22iterative_walks_kernelILi32EEvPjS0_PcS1_S1_S0_S0_PdP6loc_htS0_P11loc_ht_boolijS0_llliijS1_S1_S0_i
		.amdhsa_group_segment_fixed_size 16384
		.amdhsa_private_segment_fixed_size 80
		.amdhsa_kernarg_size 432
		.amdhsa_user_sgpr_count 4
		.amdhsa_user_sgpr_dispatch_ptr 1
		.amdhsa_user_sgpr_queue_ptr 0
		.amdhsa_user_sgpr_kernarg_segment_ptr 1
		.amdhsa_user_sgpr_dispatch_id 0
		.amdhsa_user_sgpr_kernarg_preload_length 0
		.amdhsa_user_sgpr_kernarg_preload_offset 0
		.amdhsa_user_sgpr_private_segment_size 0
		.amdhsa_uses_dynamic_stack 0
		.amdhsa_enable_private_segment 1
		.amdhsa_system_sgpr_workgroup_id_x 1
		.amdhsa_system_sgpr_workgroup_id_y 0
		.amdhsa_system_sgpr_workgroup_id_z 0
		.amdhsa_system_sgpr_workgroup_info 0
		.amdhsa_system_vgpr_workitem_id 2
		.amdhsa_next_free_vgpr 115
		.amdhsa_next_free_sgpr 100
		.amdhsa_accum_offset 116
		.amdhsa_reserve_vcc 1
		.amdhsa_float_round_mode_32 0
		.amdhsa_float_round_mode_16_64 0
		.amdhsa_float_denorm_mode_32 3
		.amdhsa_float_denorm_mode_16_64 3
		.amdhsa_dx10_clamp 1
		.amdhsa_ieee_mode 1
		.amdhsa_fp16_overflow 0
		.amdhsa_tg_split 0
		.amdhsa_exception_fp_ieee_invalid_op 0
		.amdhsa_exception_fp_denorm_src 0
		.amdhsa_exception_fp_ieee_div_zero 0
		.amdhsa_exception_fp_ieee_overflow 0
		.amdhsa_exception_fp_ieee_underflow 0
		.amdhsa_exception_fp_ieee_inexact 0
		.amdhsa_exception_int_div_zero 0
	.end_amdhsa_kernel
	.section	.text._Z22iterative_walks_kernelILi32EEvPjS0_PcS1_S1_S0_S0_PdP6loc_htS0_P11loc_ht_boolijS0_llliijS1_S1_S0_i,"axG",@progbits,_Z22iterative_walks_kernelILi32EEvPjS0_PcS1_S1_S0_S0_PdP6loc_htS0_P11loc_ht_boolijS0_llliijS1_S1_S0_i,comdat
.Lfunc_end1:
	.size	_Z22iterative_walks_kernelILi32EEvPjS0_PcS1_S1_S0_S0_PdP6loc_htS0_P11loc_ht_boolijS0_llliijS1_S1_S0_i, .Lfunc_end1-_Z22iterative_walks_kernelILi32EEvPjS0_PcS1_S1_S0_S0_PdP6loc_htS0_P11loc_ht_boolijS0_llliijS1_S1_S0_i
                                        ; -- End function
	.set _Z22iterative_walks_kernelILi32EEvPjS0_PcS1_S1_S0_S0_PdP6loc_htS0_P11loc_ht_boolijS0_llliijS1_S1_S0_i.num_vgpr, max(115, .L_Z13ht_get_atomicP6loc_ht9cstr_typej.num_vgpr)
	.set _Z22iterative_walks_kernelILi32EEvPjS0_PcS1_S1_S0_S0_PdP6loc_htS0_P11loc_ht_boolijS0_llliijS1_S1_S0_i.num_agpr, max(0, .L_Z13ht_get_atomicP6loc_ht9cstr_typej.num_agpr)
	.set _Z22iterative_walks_kernelILi32EEvPjS0_PcS1_S1_S0_S0_PdP6loc_htS0_P11loc_ht_boolijS0_llliijS1_S1_S0_i.numbered_sgpr, max(100, .L_Z13ht_get_atomicP6loc_ht9cstr_typej.numbered_sgpr)
	.set _Z22iterative_walks_kernelILi32EEvPjS0_PcS1_S1_S0_S0_PdP6loc_htS0_P11loc_ht_boolijS0_llliijS1_S1_S0_i.num_named_barrier, max(0, .L_Z13ht_get_atomicP6loc_ht9cstr_typej.num_named_barrier)
	.set _Z22iterative_walks_kernelILi32EEvPjS0_PcS1_S1_S0_S0_PdP6loc_htS0_P11loc_ht_boolijS0_llliijS1_S1_S0_i.private_seg_size, 80+max(.L_Z13ht_get_atomicP6loc_ht9cstr_typej.private_seg_size)
	.set _Z22iterative_walks_kernelILi32EEvPjS0_PcS1_S1_S0_S0_PdP6loc_htS0_P11loc_ht_boolijS0_llliijS1_S1_S0_i.uses_vcc, or(1, .L_Z13ht_get_atomicP6loc_ht9cstr_typej.uses_vcc)
	.set _Z22iterative_walks_kernelILi32EEvPjS0_PcS1_S1_S0_S0_PdP6loc_htS0_P11loc_ht_boolijS0_llliijS1_S1_S0_i.uses_flat_scratch, or(0, .L_Z13ht_get_atomicP6loc_ht9cstr_typej.uses_flat_scratch)
	.set _Z22iterative_walks_kernelILi32EEvPjS0_PcS1_S1_S0_S0_PdP6loc_htS0_P11loc_ht_boolijS0_llliijS1_S1_S0_i.has_dyn_sized_stack, or(0, .L_Z13ht_get_atomicP6loc_ht9cstr_typej.has_dyn_sized_stack)
	.set _Z22iterative_walks_kernelILi32EEvPjS0_PcS1_S1_S0_S0_PdP6loc_htS0_P11loc_ht_boolijS0_llliijS1_S1_S0_i.has_recursion, or(0, .L_Z13ht_get_atomicP6loc_ht9cstr_typej.has_recursion)
	.set _Z22iterative_walks_kernelILi32EEvPjS0_PcS1_S1_S0_S0_PdP6loc_htS0_P11loc_ht_boolijS0_llliijS1_S1_S0_i.has_indirect_call, or(0, .L_Z13ht_get_atomicP6loc_ht9cstr_typej.has_indirect_call)
	.section	.AMDGPU.csdata,"",@progbits
; Kernel info:
; codeLenInByte = 20296
; TotalNumSgprs: 106
; NumVgprs: 115
; NumAgprs: 0
; TotalNumVgprs: 115
; ScratchSize: 80
; MemoryBound: 0
; FloatMode: 240
; IeeeMode: 1
; LDSByteSize: 16384 bytes/workgroup (compile time only)
; SGPRBlocks: 13
; VGPRBlocks: 14
; NumSGPRsForWavesPerEU: 106
; NumVGPRsForWavesPerEU: 115
; AccumOffset: 116
; Occupancy: 4
; WaveLimiterHint : 1
; COMPUTE_PGM_RSRC2:SCRATCH_EN: 1
; COMPUTE_PGM_RSRC2:USER_SGPR: 4
; COMPUTE_PGM_RSRC2:TRAP_HANDLER: 0
; COMPUTE_PGM_RSRC2:TGID_X_EN: 1
; COMPUTE_PGM_RSRC2:TGID_Y_EN: 0
; COMPUTE_PGM_RSRC2:TGID_Z_EN: 0
; COMPUTE_PGM_RSRC2:TIDIG_COMP_CNT: 2
; COMPUTE_PGM_RSRC3_GFX90A:ACCUM_OFFSET: 28
; COMPUTE_PGM_RSRC3_GFX90A:TG_SPLIT: 0
	.section	.text._Z22iterative_walks_kernelILi64EEvPjS0_PcS1_S1_S0_S0_PdP6loc_htS0_P11loc_ht_boolijS0_llliijS1_S1_S0_i,"axG",@progbits,_Z22iterative_walks_kernelILi64EEvPjS0_PcS1_S1_S0_S0_PdP6loc_htS0_P11loc_ht_boolijS0_llliijS1_S1_S0_i,comdat
	.protected	_Z22iterative_walks_kernelILi64EEvPjS0_PcS1_S1_S0_S0_PdP6loc_htS0_P11loc_ht_boolijS0_llliijS1_S1_S0_i ; -- Begin function _Z22iterative_walks_kernelILi64EEvPjS0_PcS1_S1_S0_S0_PdP6loc_htS0_P11loc_ht_boolijS0_llliijS1_S1_S0_i
	.globl	_Z22iterative_walks_kernelILi64EEvPjS0_PcS1_S1_S0_S0_PdP6loc_htS0_P11loc_ht_boolijS0_llliijS1_S1_S0_i
	.p2align	8
	.type	_Z22iterative_walks_kernelILi64EEvPjS0_PcS1_S1_S0_S0_PdP6loc_htS0_P11loc_ht_boolijS0_llliijS1_S1_S0_i,@function
_Z22iterative_walks_kernelILi64EEvPjS0_PcS1_S1_S0_S0_PdP6loc_htS0_P11loc_ht_boolijS0_llliijS1_S1_S0_i: ; @_Z22iterative_walks_kernelILi64EEvPjS0_PcS1_S1_S0_S0_PdP6loc_htS0_P11loc_ht_boolijS0_llliijS1_S1_S0_i
; %bb.0:
	s_mov_b64 s[34:35], s[2:3]
	s_load_dword s2, s[2:3], 0xbc
	s_nop 0
	s_load_dword s3, s[34:35], 0xa8
	s_add_u32 s60, s34, 0xb0
	s_addc_u32 s61, s35, 0
	v_and_b32_e32 v1, 0x3ff, v0
	s_waitcnt lgkmcnt(0)
	s_and_b32 s2, s2, 0xffff
	s_mul_i32 s4, s4, s2
	v_add_u32_e32 v2, s4, v1
	v_lshrrev_b32_e32 v8, 6, v2
	v_cmp_gt_i32_e32 vcc, s3, v8
	s_movk_i32 s32, 0x50
	s_and_saveexec_b64 s[2:3], vcc
	s_cbranch_execz .LBB2_729
; %bb.1:
	s_load_dwordx16 s[44:59], s[34:35], 0x8
	s_load_dwordx4 s[4:7], s[34:35], 0x48
	s_load_dwordx2 s[2:3], s[34:35], 0x58
	s_load_dwordx2 s[62:63], s[34:35], 0x70
	s_load_dwordx4 s[8:11], s[34:35], 0x90
	v_cmp_lt_u32_e64 s[36:37], 63, v2
	v_lshlrev_b32_e32 v64, 2, v8
                                        ; implicit-def: $vgpr55
                                        ; implicit-def: $vgpr43
                                        ; implicit-def: $vgpr66_vgpr67
                                        ; implicit-def: $vgpr68_vgpr69
                                        ; implicit-def: $vgpr76_vgpr77
                                        ; implicit-def: $vgpr72_vgpr73
                                        ; implicit-def: $vgpr70_vgpr71
                                        ; implicit-def: $vgpr42
                                        ; implicit-def: $vgpr40_vgpr41
                                        ; implicit-def: $vgpr74_vgpr75
                                        ; implicit-def: $vgpr2_vgpr3
	s_and_saveexec_b64 s[12:13], s[36:37]
	s_xor_b64 s[12:13], exec, s[12:13]
	s_cbranch_execz .LBB2_7
; %bb.2:
	s_waitcnt lgkmcnt(0)
	global_load_dwordx2 v[4:5], v64, s[44:45] offset:-4
	global_load_dwordx2 v[6:7], v64, s[54:55] offset:-4
	v_lshlrev_b32_e32 v2, 3, v8
	global_load_dwordx2 v[2:3], v2, s[56:57]
	v_mov_b64_e32 v[66:67], s[48:49]
	s_waitcnt vmcnt(1)
	v_cmp_ne_u32_e32 vcc, 0, v6
	s_and_saveexec_b64 s[14:15], vcc
	s_cbranch_execz .LBB2_4
; %bb.3:
	v_add_u32_e32 v10, -1, v6
	v_mov_b32_e32 v11, 0
	v_lshl_add_u64 v[12:13], v[10:11], 2, s[52:53]
	global_load_dword v10, v[12:13], off
	s_waitcnt vmcnt(0)
	v_lshl_add_u64 v[66:67], s[48:49], 0, v[10:11]
.LBB2_4:
	s_or_b64 exec, exec, s[14:15]
	v_mov_b64_e32 v[68:69], s[50:51]
	s_and_saveexec_b64 s[14:15], vcc
	s_cbranch_execz .LBB2_6
; %bb.5:
	v_add_u32_e32 v10, -1, v6
	v_mov_b32_e32 v11, 0
	v_lshl_add_u64 v[12:13], v[10:11], 2, s[52:53]
	global_load_dword v10, v[12:13], off
	s_waitcnt vmcnt(0)
	v_lshl_add_u64 v[68:69], s[50:51], 0, v[10:11]
.LBB2_6:
	s_or_b64 exec, exec, s[14:15]
	global_load_dwordx2 v[10:11], v64, s[4:5] offset:-4
	v_mad_u64_u32 v[12:13], s[14:15], s62, v8, 0
	s_add_u32 s3, s62, s3
	v_mov_b64_e32 v[16:17], s[10:11]
	v_mul_lo_u32 v9, s63, v8
	v_mad_u64_u32 v[70:71], s[14:15], v12, 24, s[6:7]
	v_mad_u64_u32 v[76:77], s[14:15], s3, v8, v[16:17]
	v_mov_b64_e32 v[14:15], s[8:9]
	v_mov_b32_e32 v18, v4
	v_sub_u32_e32 v43, v5, v4
	v_sub_u32_e32 v55, v7, v6
	v_add_u32_e32 v5, v13, v9
	s_addc_u32 s16, s63, 0
	v_mov_b32_e32 v4, v71
	v_mov_b32_e32 v6, v77
	;; [unrolled: 1-line block ×3, first 2 shown]
	v_mad_u64_u32 v[72:73], s[14:15], s62, v8, v[14:15]
	v_mad_u64_u32 v[4:5], s[14:15], v5, 24, v[4:5]
	;; [unrolled: 1-line block ×3, first 2 shown]
	v_lshl_add_u64 v[74:75], s[46:47], 0, v[18:19]
	v_add_u32_e32 v73, v9, v73
	v_mov_b32_e32 v71, v4
	v_mov_b32_e32 v77, v6
	s_waitcnt vmcnt(0)
	v_mad_u64_u32 v[40:41], s[14:15], v10, 56, s[58:59]
	v_sub_u32_e32 v42, v11, v10
.LBB2_7:
	s_or_saveexec_b64 s[12:13], s[12:13]
	s_load_dwordx2 s[18:19], s[34:35], 0xa0
	s_xor_b64 exec, exec, s[12:13]
	s_cbranch_execz .LBB2_9
; %bb.8:
	s_waitcnt lgkmcnt(0)
	s_load_dwordx2 s[14:15], s[56:57], 0x0
	s_load_dword s3, s[44:45], 0x0
	s_load_dword s16, s[4:5], 0x0
	;; [unrolled: 1-line block ×3, first 2 shown]
	v_mov_b64_e32 v[74:75], s[46:47]
	s_waitcnt lgkmcnt(0)
	v_mov_b64_e32 v[2:3], s[14:15]
	v_mov_b64_e32 v[40:41], s[58:59]
	v_mov_b32_e32 v42, s16
	v_mov_b64_e32 v[70:71], s[6:7]
	v_mov_b64_e32 v[72:73], s[8:9]
	;; [unrolled: 1-line block ×5, first 2 shown]
	v_mov_b32_e32 v43, s3
	v_mov_b32_e32 v55, s17
.LBB2_9:
	s_or_b64 exec, exec, s[12:13]
	v_min_i32_e32 v91, 0x79, v43
	s_waitcnt lgkmcnt(0)
	s_cmp_gt_i32 s2, 20
	v_and_b32_e32 v78, 63, v1
	s_cselect_b64 s[4:5], -1, 0
	v_cmp_le_i32_e32 vcc, s2, v91
	v_mov_b32_e32 v4, 0
	s_and_b64 s[4:5], s[4:5], vcc
	s_mov_b64 s[6:7], exec
                                        ; implicit-def: $vgpr114 : SGPR spill to VGPR lane
	v_writelane_b32 v114, s6, 0
	s_and_b64 s[4:5], s[6:7], s[4:5]
	s_nop 0
	v_writelane_b32 v114, s7, 1
	s_mov_b64 exec, s[4:5]
	s_cbranch_execz .LBB2_727
; %bb.10:
	s_load_dwordx2 s[4:5], s[0:1], 0x4
	s_load_dword s33, s[34:35], 0x88
	v_bfe_u32 v4, v0, 10, 10
	v_bfe_u32 v0, v0, 20, 10
	v_mov_b32_e32 v47, 0
	s_waitcnt lgkmcnt(0)
	s_lshr_b32 s0, s4, 16
	s_mul_i32 s0, s0, s5
	v_mul_lo_u32 v1, s0, v1
	s_getpc_b64 s[0:1]
	s_add_u32 s0, s0, .str.3@rel32@lo+4
	s_addc_u32 s1, s1, .str.3@rel32@hi+12
	s_cmp_lg_u64 s[0:1], 0
	v_mad_u32_u24 v1, v4, s5, v1
	s_cselect_b64 s[70:71], -1, 0
	s_getpc_b64 s[0:1]
	s_add_u32 s0, s0, .str.4@rel32@lo+4
	s_addc_u32 s1, s1, .str.4@rel32@hi+12
	v_add_lshl_u32 v102, v1, v0, 4
	s_cmp_lg_u64 s[0:1], 0
	v_cvt_i32_f64_e32 v0, v[2:3]
	s_mov_b32 s0, 0x9999999a
	v_cvt_f64_i32_e32 v[0:1], v0
	s_mov_b32 s1, 0x3fc99999
	v_mul_f64 v[2:3], v[0:1], s[0:1]
	v_max_f64 v[82:83], v[2:3], 2.0
	s_mov_b32 s0, 0x33333333
	v_cvt_f32_u32_e32 v2, s62
	s_mov_b32 s1, 0x3fd33333
	v_mul_f64 v[0:1], v[0:1], s[0:1]
	v_max_f64 v[84:85], v[0:1], 2.0
	v_xad_u32 v0, v78, -1, v42
	v_lshrrev_b32_e32 v1, 6, v0
	v_cmp_lt_u32_e64 s[48:49], 63, v0
	v_rcp_iflag_f32_e32 v0, v2
	v_cvt_f32_u32_e32 v2, v42
	v_mov_b32_e32 v65, v47
	s_cselect_b64 s[72:73], -1, 0
	v_mul_f32_e32 v0, 0x4f7ffffe, v0
	v_rcp_iflag_f32_e32 v2, v2
	v_cvt_u32_f32_e32 v0, v0
	s_cmp_gt_i32 s62, 0
	v_add_u32_e32 v1, 1, v1
	v_mul_f32_e32 v2, 0x4f7ffffe, v2
	v_lshl_add_u64 v[80:81], s[54:55], 0, v[64:65]
	s_cselect_b64 s[74:75], -1, 0
	v_and_b32_e32 v65, 0x7fffffe, v1
	s_sub_i32 s0, 0, s62
	v_cvt_u32_f32_e32 v2, v2
	v_cmp_ne_u32_e64 s[50:51], v1, v65
	v_mul_lo_u32 v1, s0, v0
	v_mul_hi_u32 v1, v0, v1
	v_add_u32_e32 v103, v0, v1
	v_sub_u32_e32 v0, 0, v42
	v_mul_lo_u32 v0, v0, v2
	v_mul_hi_u32 v0, v2, v0
	v_mov_b32_e32 v79, v47
	v_mov_b32_e32 v59, 1
	v_add_u32_e32 v90, v2, v0
	v_mbcnt_lo_u32_b32 v0, -1, 0
	v_writelane_b32 v114, s18, 2
	v_cmp_lt_u32_e64 s[38:39], v78, v42
	s_mov_b32 s56, 0
	v_cmp_ne_u32_e64 s[42:43], 0, v55
	s_mov_b64 s[68:69], 0
	s_mov_b32 s41, 16
	s_mov_b32 s88, 32
	;; [unrolled: 1-line block ×3, first 2 shown]
	v_cmp_gt_i64_e64 s[44:45], s[62:63], v[78:79]
	v_cmp_eq_u32_e64 s[46:47], 0, v78
	v_lshl_or_b32 v86, v65, 6, v78
	v_or_b32_e32 v89, 64, v78
	v_mov_b32_e32 v88, v78
	v_lshl_add_u64 v[92:93], v[40:41], 0, 8
	v_mov_b32_e32 v4, s2
	v_mov_b32_e32 v104, -1
	s_mov_b64 s[76:77], 0xe00
	v_mbcnt_hi_u32_b32 v105, -1, v0
	s_movk_i32 s90, 0xff1d
	s_movk_i32 s91, 0x4e
	;; [unrolled: 1-line block ×9, first 2 shown]
	v_mov_b32_e32 v106, 0x41
	v_mov_b32_e32 v107, 0x43
	;; [unrolled: 1-line block ×4, first 2 shown]
	s_mov_b32 s99, 0x5bd1e995
	s_movk_i32 s64, 0x58
	s_movk_i32 s65, 0x57
	v_mov_b32_e32 v58, 2
	v_mov_b32_e32 v60, 33
	;; [unrolled: 1-line block ×8, first 2 shown]
	v_writelane_b32 v114, s19, 3
	s_branch .LBB2_13
.LBB2_11:                               ;   in Loop: Header=BB2_13 Depth=1
	s_or_b64 exec, exec, s[4:5]
	s_orn2_b64 s[4:5], s[0:1], exec
.LBB2_12:                               ;   in Loop: Header=BB2_13 Depth=1
	s_or_b64 exec, exec, s[2:3]
	s_and_b64 s[0:1], exec, s[4:5]
	s_or_b64 s[68:69], s[0:1], s[68:69]
	s_andn2_b64 exec, exec, s[68:69]
	s_cbranch_execz .LBB2_726
.LBB2_13:                               ; =>This Loop Header: Depth=1
                                        ;     Child Loop BB2_16 Depth 2
                                        ;     Child Loop BB2_22 Depth 2
	;; [unrolled: 1-line block ×3, first 2 shown]
                                        ;       Child Loop BB2_41 Depth 3
                                        ;         Child Loop BB2_45 Depth 4
                                        ;         Child Loop BB2_53 Depth 4
	;; [unrolled: 1-line block ×9, first 2 shown]
                                        ;           Child Loop BB2_74 Depth 5
                                        ;           Child Loop BB2_82 Depth 5
	;; [unrolled: 1-line block ×11, first 2 shown]
                                        ;     Child Loop BB2_228 Depth 2
                                        ;       Child Loop BB2_337 Depth 3
                                        ;       Child Loop BB2_345 Depth 3
	;; [unrolled: 1-line block ×9, first 2 shown]
                                        ;         Child Loop BB2_438 Depth 4
                                        ;         Child Loop BB2_446 Depth 4
	;; [unrolled: 1-line block ×11, first 2 shown]
                                        ;     Child Loop BB2_581 Depth 2
                                        ;     Child Loop BB2_584 Depth 2
                                        ;     Child Loop BB2_591 Depth 2
                                        ;       Child Loop BB2_597 Depth 3
                                        ;       Child Loop BB2_616 Depth 3
	;; [unrolled: 1-line block ×3, first 2 shown]
                                        ;         Child Loop BB2_627 Depth 4
                                        ;       Child Loop BB2_641 Depth 3
                                        ;       Child Loop BB2_660 Depth 3
	;; [unrolled: 1-line block ×3, first 2 shown]
                                        ;         Child Loop BB2_671 Depth 4
                                        ;     Child Loop BB2_712 Depth 2
	s_and_saveexec_b64 s[0:1], s[38:39]
	s_cbranch_execz .LBB2_23
; %bb.14:                               ;   in Loop: Header=BB2_13 Depth=1
	s_mov_b64 s[4:5], -1
	v_mov_b32_e32 v5, v78
	s_waitcnt vmcnt(0)
	v_mov_b64_e32 v[0:1], v[78:79]
	s_and_saveexec_b64 s[2:3], s[48:49]
	s_cbranch_execz .LBB2_20
; %bb.15:                               ;   in Loop: Header=BB2_13 Depth=1
	s_mov_b64 s[4:5], 0
	v_mov_b32_e32 v2, v65
	v_mov_b64_e32 v[0:1], v[88:89]
.LBB2_16:                               ;   Parent Loop BB2_13 Depth=1
                                        ; =>  This Inner Loop Header: Depth=2
	v_add_u32_e32 v2, -2, v2
	v_cmp_eq_u32_e32 vcc, 0, v2
	v_mad_u64_u32 v[6:7], s[6:7], v0, 56, v[40:41]
	v_mad_u64_u32 v[8:9], s[6:7], v1, 56, v[40:41]
	v_add_u32_e32 v1, 0x80, v1
	v_add_u32_e32 v0, 0x80, v0
	s_or_b64 s[4:5], vcc, s[4:5]
	global_store_dword v[6:7], v104, off offset:8
	global_store_dword v[8:9], v104, off offset:8
	s_andn2_b64 exec, exec, s[4:5]
	s_cbranch_execnz .LBB2_16
; %bb.17:                               ;   in Loop: Header=BB2_13 Depth=1
	s_or_b64 exec, exec, s[4:5]
	s_mov_b64 s[4:5], 0
                                        ; implicit-def: $vgpr0_vgpr1
	s_and_saveexec_b64 s[6:7], s[50:51]
; %bb.18:                               ;   in Loop: Header=BB2_13 Depth=1
	v_mov_b32_e32 v87, v47
	s_mov_b64 s[4:5], exec
	v_mov_b64_e32 v[0:1], v[86:87]
; %bb.19:                               ;   in Loop: Header=BB2_13 Depth=1
	s_or_b64 exec, exec, s[6:7]
	s_orn2_b64 s[4:5], s[4:5], exec
	v_mov_b32_e32 v5, v86
.LBB2_20:                               ;   in Loop: Header=BB2_13 Depth=1
	s_or_b64 exec, exec, s[2:3]
	s_and_b64 exec, exec, s[4:5]
	s_cbranch_execz .LBB2_23
; %bb.21:                               ;   in Loop: Header=BB2_13 Depth=1
	v_mad_u64_u32 v[2:3], s[2:3], v0, 56, v[92:93]
	v_mov_b32_e32 v0, v3
	v_mad_u64_u32 v[0:1], s[2:3], v1, 56, v[0:1]
	v_mov_b32_e32 v3, v0
	s_mov_b64 s[2:3], 0
.LBB2_22:                               ;   Parent Loop BB2_13 Depth=1
                                        ; =>  This Inner Loop Header: Depth=2
	v_add_u32_e32 v5, 64, v5
	v_cmp_ge_u32_e32 vcc, v5, v42
	global_store_dword v[2:3], v104, off
	s_or_b64 s[2:3], vcc, s[2:3]
	v_lshl_add_u64 v[2:3], v[2:3], 0, s[76:77]
	s_andn2_b64 exec, exec, s[2:3]
	s_cbranch_execnz .LBB2_22
.LBB2_23:                               ;   in Loop: Header=BB2_13 Depth=1
	s_or_b64 exec, exec, s[0:1]
	s_and_saveexec_b64 s[78:79], s[42:43]
	s_cbranch_execz .LBB2_224
; %bb.24:                               ;   in Loop: Header=BB2_13 Depth=1
	v_mov_b32_e32 v94, 0
	s_mov_b64 s[80:81], 0
	s_mov_b32 s66, 0
	s_branch .LBB2_27
.LBB2_25:                               ;   in Loop: Header=BB2_27 Depth=2
	s_or_b64 exec, exec, s[84:85]
	v_add_u32_e32 v94, v87, v94
.LBB2_26:                               ;   in Loop: Header=BB2_27 Depth=2
	s_or_b64 exec, exec, s[82:83]
	s_add_i32 s66, s66, 1
	v_cmp_eq_u32_e32 vcc, s66, v55
	s_or_b64 s[80:81], vcc, s[80:81]
	s_andn2_b64 exec, exec, s[80:81]
	s_cbranch_execz .LBB2_224
.LBB2_27:                               ;   Parent Loop BB2_13 Depth=1
                                        ; =>  This Loop Header: Depth=2
                                        ;       Child Loop BB2_41 Depth 3
                                        ;         Child Loop BB2_45 Depth 4
                                        ;         Child Loop BB2_53 Depth 4
	;; [unrolled: 1-line block ×9, first 2 shown]
                                        ;           Child Loop BB2_74 Depth 5
                                        ;           Child Loop BB2_82 Depth 5
	;; [unrolled: 1-line block ×11, first 2 shown]
	s_cmp_lg_u32 s66, 0
	s_cbranch_scc0 .LBB2_30
; %bb.28:                               ;   in Loop: Header=BB2_27 Depth=2
	global_load_dword v0, v[80:81], off
	s_waitcnt vmcnt(0)
	v_sub_u32_e32 v0, v0, v55
	v_add_u32_e32 v46, s66, v0
	v_lshl_add_u64 v[0:1], v[46:47], 2, s[52:53]
	v_add_u32_e32 v46, -1, v46
	v_lshl_add_u64 v[2:3], v[46:47], 2, s[52:53]
	global_load_dword v0, v[0:1], off
	s_nop 0
	global_load_dword v1, v[2:3], off
	s_waitcnt vmcnt(0)
	v_sub_u32_e32 v87, v0, v1
	s_cbranch_execz .LBB2_31
; %bb.29:                               ;   in Loop: Header=BB2_27 Depth=2
	v_cmp_ge_i32_e32 vcc, v87, v4
	s_and_saveexec_b64 s[82:83], vcc
	s_cbranch_execz .LBB2_26
	s_branch .LBB2_38
.LBB2_30:                               ;   in Loop: Header=BB2_27 Depth=2
                                        ; implicit-def: $vgpr87
.LBB2_31:                               ;   in Loop: Header=BB2_27 Depth=2
                                        ; implicit-def: $vgpr87
	s_and_saveexec_b64 s[0:1], s[36:37]
	s_xor_b64 s[0:1], exec, s[0:1]
	s_cbranch_execz .LBB2_35
; %bb.32:                               ;   in Loop: Header=BB2_27 Depth=2
	global_load_dwordx2 v[0:1], v[80:81], off offset:-4
	s_waitcnt vmcnt(0)
	v_sub_u32_e32 v46, v1, v55
	v_lshl_add_u64 v[2:3], v[46:47], 2, s[52:53]
	global_load_dword v87, v[2:3], off
	v_cmp_ne_u32_e32 vcc, 0, v0
	s_and_saveexec_b64 s[2:3], vcc
	s_cbranch_execz .LBB2_34
; %bb.33:                               ;   in Loop: Header=BB2_27 Depth=2
	v_add_u32_e32 v46, -1, v0
	v_lshl_add_u64 v[0:1], v[46:47], 2, s[52:53]
	global_load_dword v0, v[0:1], off
	s_waitcnt vmcnt(0)
	v_sub_u32_e32 v87, v87, v0
.LBB2_34:                               ;   in Loop: Header=BB2_27 Depth=2
	s_or_b64 exec, exec, s[2:3]
.LBB2_35:                               ;   in Loop: Header=BB2_27 Depth=2
	s_andn2_saveexec_b64 s[0:1], s[0:1]
	s_cbranch_execz .LBB2_37
; %bb.36:                               ;   in Loop: Header=BB2_27 Depth=2
	global_load_dword v0, v47, s[54:55]
	s_waitcnt vmcnt(0)
	v_sub_u32_e32 v46, v0, v55
	v_lshl_add_u64 v[0:1], v[46:47], 2, s[52:53]
	global_load_dword v87, v[0:1], off
.LBB2_37:                               ;   in Loop: Header=BB2_27 Depth=2
	s_or_b64 exec, exec, s[0:1]
	s_waitcnt vmcnt(0)
	v_cmp_ge_i32_e32 vcc, v87, v4
	s_and_saveexec_b64 s[82:83], vcc
	s_cbranch_execz .LBB2_26
.LBB2_38:                               ;   in Loop: Header=BB2_27 Depth=2
	v_sub_u32_e32 v113, v87, v4
	v_cmp_lt_i32_e32 vcc, v78, v113
	s_and_saveexec_b64 s[84:85], vcc
	s_cbranch_execz .LBB2_25
; %bb.39:                               ;   in Loop: Header=BB2_27 Depth=2
	v_mov_b32_e32 v95, v47
	v_lshl_add_u64 v[96:97], v[66:67], 0, v[94:95]
	v_lshl_add_u64 v[98:99], v[68:69], 0, v[94:95]
	s_mov_b64 s[86:87], 0
	v_mov_b32_e32 v100, v78
	s_branch .LBB2_41
.LBB2_40:                               ;   in Loop: Header=BB2_41 Depth=3
	s_or_b64 exec, exec, s[0:1]
	v_add_u32_e32 v100, 64, v100
	v_cmp_ge_i32_e32 vcc, v100, v113
	s_or_b64 s[86:87], vcc, s[86:87]
	s_andn2_b64 exec, exec, s[86:87]
	s_cbranch_execz .LBB2_25
.LBB2_41:                               ;   Parent Loop BB2_13 Depth=1
                                        ;     Parent Loop BB2_27 Depth=2
                                        ; =>    This Loop Header: Depth=3
                                        ;         Child Loop BB2_45 Depth 4
                                        ;         Child Loop BB2_53 Depth 4
	;; [unrolled: 1-line block ×9, first 2 shown]
                                        ;           Child Loop BB2_74 Depth 5
                                        ;           Child Loop BB2_82 Depth 5
	;; [unrolled: 1-line block ×11, first 2 shown]
	s_add_u32 s8, s34, 0xb0
	v_mov_b32_e32 v101, v47
	s_addc_u32 s9, s35, 0
	v_lshl_add_u64 v[2:3], v[96:97], 0, v[100:101]
	s_getpc_b64 s[0:1]
	s_add_u32 s0, s0, _Z13ht_get_atomicP6loc_ht9cstr_typej@rel32@lo+4
	s_addc_u32 s1, s1, _Z13ht_get_atomicP6loc_ht9cstr_typej@rel32@hi+12
	v_mov_b32_e32 v0, v40
	s_waitcnt vmcnt(0)
	v_mov_b32_e32 v1, v41
	v_mov_b32_e32 v5, v42
	s_swappc_b64 s[30:31], s[0:1]
	v_add_u32_e32 v2, v100, v4
	v_cmp_ge_i32_e32 vcc, v2, v87
	s_and_saveexec_b64 s[2:3], vcc
	s_cbranch_execz .LBB2_181
; %bb.42:                               ;   in Loop: Header=BB2_41 Depth=3
	s_load_dwordx2 s[4:5], s[60:61], 0x50
	v_readfirstlane_b32 s0, v105
	v_mov_b64_e32 v[10:11], 0
	s_nop 0
	v_cmp_eq_u32_e64 s[0:1], s0, v105
	s_and_saveexec_b64 s[6:7], s[0:1]
	s_cbranch_execz .LBB2_48
; %bb.43:                               ;   in Loop: Header=BB2_41 Depth=3
	s_waitcnt lgkmcnt(0)
	global_load_dwordx2 v[8:9], v47, s[4:5] offset:24 sc0 sc1
	s_waitcnt vmcnt(0)
	buffer_inv sc0 sc1
	global_load_dwordx2 v[6:7], v47, s[4:5] offset:40
	global_load_dwordx2 v[10:11], v47, s[4:5]
	s_waitcnt vmcnt(1)
	v_and_b32_e32 v3, v6, v8
	v_and_b32_e32 v5, v7, v9
	v_mul_lo_u32 v5, v5, 24
	v_mul_hi_u32 v6, v3, 24
	v_add_u32_e32 v7, v6, v5
	v_mul_lo_u32 v6, v3, 24
	s_waitcnt vmcnt(0)
	v_lshl_add_u64 v[6:7], v[10:11], 0, v[6:7]
	global_load_dwordx2 v[6:7], v[6:7], off sc0 sc1
	s_waitcnt vmcnt(0)
	global_atomic_cmpswap_x2 v[10:11], v47, v[6:9], s[4:5] offset:24 sc0 sc1
	s_waitcnt vmcnt(0)
	buffer_inv sc0 sc1
	v_cmp_ne_u64_e32 vcc, v[10:11], v[8:9]
	s_and_saveexec_b64 s[8:9], vcc
	s_cbranch_execz .LBB2_47
; %bb.44:                               ;   in Loop: Header=BB2_41 Depth=3
	s_mov_b64 s[10:11], 0
.LBB2_45:                               ;   Parent Loop BB2_13 Depth=1
                                        ;     Parent Loop BB2_27 Depth=2
                                        ;       Parent Loop BB2_41 Depth=3
                                        ; =>      This Inner Loop Header: Depth=4
	s_sleep 1
	global_load_dwordx2 v[6:7], v47, s[4:5] offset:40
	global_load_dwordx2 v[12:13], v47, s[4:5]
	v_mov_b64_e32 v[8:9], v[10:11]
	s_waitcnt vmcnt(1)
	v_and_b32_e32 v5, v6, v8
	v_and_b32_e32 v3, v7, v9
	s_waitcnt vmcnt(0)
	v_mad_u64_u32 v[6:7], s[12:13], v5, 24, v[12:13]
	v_mov_b32_e32 v10, v7
	v_mad_u64_u32 v[10:11], s[12:13], v3, 24, v[10:11]
	v_mov_b32_e32 v7, v10
	global_load_dwordx2 v[6:7], v[6:7], off sc0 sc1
	s_waitcnt vmcnt(0)
	global_atomic_cmpswap_x2 v[10:11], v47, v[6:9], s[4:5] offset:24 sc0 sc1
	s_waitcnt vmcnt(0)
	buffer_inv sc0 sc1
	v_cmp_eq_u64_e32 vcc, v[10:11], v[8:9]
	s_or_b64 s[10:11], vcc, s[10:11]
	s_andn2_b64 exec, exec, s[10:11]
	s_cbranch_execnz .LBB2_45
; %bb.46:                               ;   in Loop: Header=BB2_41 Depth=3
	s_or_b64 exec, exec, s[10:11]
.LBB2_47:                               ;   in Loop: Header=BB2_41 Depth=3
	s_or_b64 exec, exec, s[8:9]
.LBB2_48:                               ;   in Loop: Header=BB2_41 Depth=3
	s_or_b64 exec, exec, s[6:7]
	s_waitcnt lgkmcnt(0)
	global_load_dwordx2 v[12:13], v47, s[4:5] offset:40
	global_load_dwordx4 v[6:9], v47, s[4:5]
	v_readfirstlane_b32 s7, v11
	v_readfirstlane_b32 s6, v10
	s_mov_b64 s[8:9], exec
	s_waitcnt vmcnt(1)
	v_readfirstlane_b32 s10, v12
	v_readfirstlane_b32 s11, v13
	s_and_b64 s[10:11], s[10:11], s[6:7]
	s_mul_i32 s12, s11, 24
	s_mul_hi_u32 s13, s10, 24
	s_add_i32 s13, s13, s12
	s_mul_i32 s12, s10, 24
	s_waitcnt vmcnt(0)
	v_lshl_add_u64 v[10:11], v[6:7], 0, s[12:13]
	s_and_saveexec_b64 s[12:13], s[0:1]
	s_cbranch_execz .LBB2_50
; %bb.49:                               ;   in Loop: Header=BB2_41 Depth=3
	v_mov_b64_e32 v[56:57], s[8:9]
	global_store_dwordx4 v[10:11], v[56:59], off offset:8
.LBB2_50:                               ;   in Loop: Header=BB2_41 Depth=3
	s_or_b64 exec, exec, s[12:13]
	s_lshl_b64 s[8:9], s[10:11], 12
	s_mov_b32 s57, s56
	v_lshl_add_u64 v[12:13], v[8:9], 0, s[8:9]
	s_mov_b32 s58, s56
	s_mov_b32 s59, s56
	v_mov_b64_e32 v[14:15], s[56:57]
	v_lshlrev_b32_e32 v26, 6, v105
	v_readfirstlane_b32 s8, v12
	v_readfirstlane_b32 s9, v13
	v_mov_b64_e32 v[16:17], s[58:59]
	s_nop 3
	global_store_dwordx4 v26, v[60:63], s[8:9]
	global_store_dwordx4 v26, v[14:17], s[8:9] offset:16
	global_store_dwordx4 v26, v[14:17], s[8:9] offset:32
	;; [unrolled: 1-line block ×3, first 2 shown]
	s_and_saveexec_b64 s[8:9], s[0:1]
	s_cbranch_execz .LBB2_58
; %bb.51:                               ;   in Loop: Header=BB2_41 Depth=3
	global_load_dwordx2 v[18:19], v47, s[4:5] offset:32 sc0 sc1
	global_load_dwordx2 v[8:9], v47, s[4:5] offset:40
	v_mov_b32_e32 v16, s6
	v_mov_b32_e32 v17, s7
	s_waitcnt vmcnt(0)
	v_and_b32_e32 v3, s6, v8
	v_and_b32_e32 v5, s7, v9
	v_mul_lo_u32 v5, v5, 24
	v_mul_hi_u32 v9, v3, 24
	v_mul_lo_u32 v8, v3, 24
	v_add_u32_e32 v9, v9, v5
	v_lshl_add_u64 v[14:15], v[6:7], 0, v[8:9]
	global_store_dwordx2 v[14:15], v[18:19], off
	buffer_wbl2 sc0 sc1
	s_waitcnt vmcnt(0)
	global_atomic_cmpswap_x2 v[8:9], v47, v[16:19], s[4:5] offset:32 sc0 sc1
	s_waitcnt vmcnt(0)
	v_cmp_ne_u64_e32 vcc, v[8:9], v[18:19]
	s_and_saveexec_b64 s[10:11], vcc
	s_cbranch_execz .LBB2_54
; %bb.52:                               ;   in Loop: Header=BB2_41 Depth=3
	s_mov_b64 s[12:13], 0
.LBB2_53:                               ;   Parent Loop BB2_13 Depth=1
                                        ;     Parent Loop BB2_27 Depth=2
                                        ;       Parent Loop BB2_41 Depth=3
                                        ; =>      This Inner Loop Header: Depth=4
	s_sleep 1
	global_store_dwordx2 v[14:15], v[8:9], off
	v_mov_b32_e32 v6, s6
	v_mov_b32_e32 v7, s7
	buffer_wbl2 sc0 sc1
	s_waitcnt vmcnt(0)
	global_atomic_cmpswap_x2 v[6:7], v47, v[6:9], s[4:5] offset:32 sc0 sc1
	s_waitcnt vmcnt(0)
	v_cmp_eq_u64_e32 vcc, v[6:7], v[8:9]
	s_or_b64 s[12:13], vcc, s[12:13]
	v_mov_b64_e32 v[8:9], v[6:7]
	s_andn2_b64 exec, exec, s[12:13]
	s_cbranch_execnz .LBB2_53
.LBB2_54:                               ;   in Loop: Header=BB2_41 Depth=3
	s_or_b64 exec, exec, s[10:11]
	global_load_dwordx2 v[6:7], v47, s[4:5] offset:16
	s_mov_b64 s[12:13], exec
	v_mbcnt_lo_u32_b32 v3, s12, 0
	v_mbcnt_hi_u32_b32 v3, s13, v3
	v_cmp_eq_u32_e32 vcc, 0, v3
	s_and_saveexec_b64 s[10:11], vcc
	s_cbranch_execz .LBB2_56
; %bb.55:                               ;   in Loop: Header=BB2_41 Depth=3
	s_bcnt1_i32_b64 s12, s[12:13]
	v_mov_b32_e32 v46, s12
	buffer_wbl2 sc0 sc1
	s_waitcnt vmcnt(0)
	global_atomic_add_x2 v[6:7], v[46:47], off offset:8 sc1
.LBB2_56:                               ;   in Loop: Header=BB2_41 Depth=3
	s_or_b64 exec, exec, s[10:11]
	s_waitcnt vmcnt(0)
	global_load_dwordx2 v[8:9], v[6:7], off offset:16
	s_waitcnt vmcnt(0)
	v_cmp_eq_u64_e32 vcc, 0, v[8:9]
	s_cbranch_vccnz .LBB2_58
; %bb.57:                               ;   in Loop: Header=BB2_41 Depth=3
	global_load_dword v46, v[6:7], off offset:24
	s_waitcnt vmcnt(0)
	v_readfirstlane_b32 s10, v46
	s_and_b32 m0, s10, 0xffffff
	buffer_wbl2 sc0 sc1
	global_store_dwordx2 v[8:9], v[46:47], off sc0 sc1
	s_sendmsg sendmsg(MSG_INTERRUPT)
.LBB2_58:                               ;   in Loop: Header=BB2_41 Depth=3
	s_or_b64 exec, exec, s[8:9]
	v_mov_b32_e32 v27, v47
	v_lshl_add_u64 v[6:7], v[12:13], 0, v[26:27]
	s_branch .LBB2_62
.LBB2_59:                               ;   in Loop: Header=BB2_62 Depth=4
	s_or_b64 exec, exec, s[8:9]
	v_readfirstlane_b32 s8, v3
	s_cmp_eq_u32 s8, 0
	s_cbranch_scc1 .LBB2_61
; %bb.60:                               ;   in Loop: Header=BB2_62 Depth=4
	s_sleep 1
	s_cbranch_execnz .LBB2_62
	s_branch .LBB2_64
.LBB2_61:                               ;   in Loop: Header=BB2_41 Depth=3
	s_branch .LBB2_64
.LBB2_62:                               ;   Parent Loop BB2_13 Depth=1
                                        ;     Parent Loop BB2_27 Depth=2
                                        ;       Parent Loop BB2_41 Depth=3
                                        ; =>      This Inner Loop Header: Depth=4
	v_mov_b32_e32 v3, 1
	s_and_saveexec_b64 s[8:9], s[0:1]
	s_cbranch_execz .LBB2_59
; %bb.63:                               ;   in Loop: Header=BB2_62 Depth=4
	global_load_dword v3, v[10:11], off offset:20 sc0 sc1
	s_waitcnt vmcnt(0)
	buffer_inv sc0 sc1
	v_and_b32_e32 v3, 1, v3
	s_branch .LBB2_59
.LBB2_64:                               ;   in Loop: Header=BB2_41 Depth=3
	global_load_dwordx2 v[44:45], v[6:7], off
	s_and_saveexec_b64 s[8:9], s[0:1]
	s_cbranch_execz .LBB2_68
; %bb.65:                               ;   in Loop: Header=BB2_41 Depth=3
	global_load_dwordx2 v[6:7], v47, s[4:5] offset:40
	global_load_dwordx2 v[14:15], v47, s[4:5] offset:24 sc0 sc1
	global_load_dwordx2 v[8:9], v47, s[4:5]
	s_waitcnt vmcnt(2)
	v_readfirstlane_b32 s10, v6
	v_readfirstlane_b32 s11, v7
	s_add_u32 s12, s10, 1
	s_addc_u32 s13, s11, 0
	s_add_u32 s0, s12, s6
	s_addc_u32 s1, s13, s7
	s_cmp_eq_u64 s[0:1], 0
	s_cselect_b32 s1, s13, s1
	s_cselect_b32 s0, s12, s0
	s_and_b64 s[6:7], s[0:1], s[10:11]
	s_mul_i32 s7, s7, 24
	s_mul_hi_u32 s10, s6, 24
	s_mul_i32 s6, s6, 24
	s_add_i32 s7, s10, s7
	s_waitcnt vmcnt(0)
	v_lshl_add_u64 v[10:11], v[8:9], 0, s[6:7]
	v_mov_b32_e32 v12, s0
	global_store_dwordx2 v[10:11], v[14:15], off
	v_mov_b32_e32 v13, s1
	buffer_wbl2 sc0 sc1
	s_waitcnt vmcnt(0)
	global_atomic_cmpswap_x2 v[8:9], v47, v[12:15], s[4:5] offset:24 sc0 sc1
	s_waitcnt vmcnt(0)
	v_cmp_ne_u64_e32 vcc, v[8:9], v[14:15]
	s_and_b64 exec, exec, vcc
	s_cbranch_execz .LBB2_68
; %bb.66:                               ;   in Loop: Header=BB2_41 Depth=3
	s_mov_b64 s[6:7], 0
.LBB2_67:                               ;   Parent Loop BB2_13 Depth=1
                                        ;     Parent Loop BB2_27 Depth=2
                                        ;       Parent Loop BB2_41 Depth=3
                                        ; =>      This Inner Loop Header: Depth=4
	s_sleep 1
	global_store_dwordx2 v[10:11], v[8:9], off
	v_mov_b32_e32 v6, s0
	v_mov_b32_e32 v7, s1
	buffer_wbl2 sc0 sc1
	s_waitcnt vmcnt(0)
	global_atomic_cmpswap_x2 v[6:7], v47, v[6:9], s[4:5] offset:24 sc0 sc1
	s_waitcnt vmcnt(0)
	v_cmp_eq_u64_e32 vcc, v[6:7], v[8:9]
	s_or_b64 s[6:7], vcc, s[6:7]
	v_mov_b64_e32 v[8:9], v[6:7]
	s_andn2_b64 exec, exec, s[6:7]
	s_cbranch_execnz .LBB2_67
.LBB2_68:                               ;   in Loop: Header=BB2_41 Depth=3
	s_or_b64 exec, exec, s[8:9]
	s_and_b64 vcc, exec, s[70:71]
	s_cbranch_vccz .LBB2_154
; %bb.69:                               ;   in Loop: Header=BB2_41 Depth=3
	s_waitcnt vmcnt(0)
	v_and_b32_e32 v6, -3, v44
	v_mov_b32_e32 v7, v45
	s_mov_b64 s[8:9], 45
	s_getpc_b64 s[6:7]
	s_add_u32 s6, s6, .str.3@rel32@lo+4
	s_addc_u32 s7, s7, .str.3@rel32@hi+12
	s_branch .LBB2_71
.LBB2_70:                               ;   in Loop: Header=BB2_71 Depth=4
	s_or_b64 exec, exec, s[14:15]
	s_sub_u32 s8, s8, s10
	s_subb_u32 s9, s9, s11
	s_add_u32 s6, s6, s10
	s_addc_u32 s7, s7, s11
	s_cmp_lg_u64 s[8:9], 0
	s_cbranch_scc0 .LBB2_153
.LBB2_71:                               ;   Parent Loop BB2_13 Depth=1
                                        ;     Parent Loop BB2_27 Depth=2
                                        ;       Parent Loop BB2_41 Depth=3
                                        ; =>      This Loop Header: Depth=4
                                        ;           Child Loop BB2_74 Depth 5
                                        ;           Child Loop BB2_82 Depth 5
	;; [unrolled: 1-line block ×11, first 2 shown]
	v_cmp_lt_u64_e64 s[0:1], s[8:9], 56
	s_and_b64 s[0:1], s[0:1], exec
	s_cselect_b32 s11, s9, 0
	s_cselect_b32 s10, s8, 56
	v_cmp_gt_u64_e64 s[12:13], s[8:9], 7
	s_add_u32 s0, s6, 8
	s_addc_u32 s1, s7, 0
	s_and_b64 vcc, exec, s[12:13]
	s_cbranch_vccnz .LBB2_75
; %bb.72:                               ;   in Loop: Header=BB2_71 Depth=4
	s_cmp_eq_u64 s[8:9], 0
	s_cbranch_scc1 .LBB2_76
; %bb.73:                               ;   in Loop: Header=BB2_71 Depth=4
	s_lshl_b64 s[0:1], s[10:11], 3
	s_mov_b64 s[12:13], 0
	s_waitcnt vmcnt(0)
	v_mov_b64_e32 v[8:9], 0
	s_mov_b64 s[14:15], s[6:7]
.LBB2_74:                               ;   Parent Loop BB2_13 Depth=1
                                        ;     Parent Loop BB2_27 Depth=2
                                        ;       Parent Loop BB2_41 Depth=3
                                        ;         Parent Loop BB2_71 Depth=4
                                        ; =>        This Inner Loop Header: Depth=5
	global_load_ubyte v3, v47, s[14:15]
	s_waitcnt vmcnt(0)
	v_and_b32_e32 v46, 0xffff, v3
	v_lshlrev_b64 v[10:11], s12, v[46:47]
	s_add_u32 s12, s12, 8
	s_addc_u32 s13, s13, 0
	s_add_u32 s14, s14, 1
	s_addc_u32 s15, s15, 0
	v_or_b32_e32 v8, v10, v8
	s_cmp_lg_u32 s0, s12
	v_or_b32_e32 v9, v11, v9
	s_cbranch_scc1 .LBB2_74
	s_branch .LBB2_77
.LBB2_75:                               ;   in Loop: Header=BB2_71 Depth=4
	s_mov_b32 s16, 0
	s_branch .LBB2_78
.LBB2_76:                               ;   in Loop: Header=BB2_71 Depth=4
	s_waitcnt vmcnt(0)
	v_mov_b64_e32 v[8:9], 0
.LBB2_77:                               ;   in Loop: Header=BB2_71 Depth=4
	s_mov_b64 s[0:1], s[6:7]
	s_mov_b32 s16, 0
	s_cbranch_execnz .LBB2_79
.LBB2_78:                               ;   in Loop: Header=BB2_71 Depth=4
	global_load_dwordx2 v[8:9], v47, s[6:7]
	s_add_i32 s16, s10, -8
.LBB2_79:                               ;   in Loop: Header=BB2_71 Depth=4
	s_add_u32 s12, s0, 8
	s_addc_u32 s13, s1, 0
	s_cmp_gt_u32 s16, 7
	s_cbranch_scc1 .LBB2_83
; %bb.80:                               ;   in Loop: Header=BB2_71 Depth=4
	s_cmp_eq_u32 s16, 0
	s_cbranch_scc1 .LBB2_84
; %bb.81:                               ;   in Loop: Header=BB2_71 Depth=4
	s_mov_b64 s[12:13], 0
	v_mov_b64_e32 v[10:11], 0
	s_mov_b64 s[14:15], 0
.LBB2_82:                               ;   Parent Loop BB2_13 Depth=1
                                        ;     Parent Loop BB2_27 Depth=2
                                        ;       Parent Loop BB2_41 Depth=3
                                        ;         Parent Loop BB2_71 Depth=4
                                        ; =>        This Inner Loop Header: Depth=5
	s_add_u32 s18, s0, s14
	s_addc_u32 s19, s1, s15
	global_load_ubyte v3, v47, s[18:19]
	s_add_u32 s14, s14, 1
	s_addc_u32 s15, s15, 0
	s_waitcnt vmcnt(0)
	v_and_b32_e32 v46, 0xffff, v3
	v_lshlrev_b64 v[12:13], s12, v[46:47]
	s_add_u32 s12, s12, 8
	s_addc_u32 s13, s13, 0
	v_or_b32_e32 v10, v12, v10
	s_cmp_lg_u32 s16, s14
	v_or_b32_e32 v11, v13, v11
	s_cbranch_scc1 .LBB2_82
	s_branch .LBB2_85
.LBB2_83:                               ;   in Loop: Header=BB2_71 Depth=4
                                        ; implicit-def: $vgpr10_vgpr11
	s_mov_b32 s17, 0
	s_branch .LBB2_86
.LBB2_84:                               ;   in Loop: Header=BB2_71 Depth=4
	v_mov_b64_e32 v[10:11], 0
.LBB2_85:                               ;   in Loop: Header=BB2_71 Depth=4
	s_mov_b64 s[12:13], s[0:1]
	s_mov_b32 s17, 0
	s_cbranch_execnz .LBB2_87
.LBB2_86:                               ;   in Loop: Header=BB2_71 Depth=4
	global_load_dwordx2 v[10:11], v47, s[0:1]
	s_add_i32 s17, s16, -8
.LBB2_87:                               ;   in Loop: Header=BB2_71 Depth=4
	s_add_u32 s0, s12, 8
	s_addc_u32 s1, s13, 0
	s_cmp_gt_u32 s17, 7
	s_cbranch_scc1 .LBB2_91
; %bb.88:                               ;   in Loop: Header=BB2_71 Depth=4
	s_cmp_eq_u32 s17, 0
	s_cbranch_scc1 .LBB2_92
; %bb.89:                               ;   in Loop: Header=BB2_71 Depth=4
	s_mov_b64 s[0:1], 0
	v_mov_b64_e32 v[12:13], 0
	s_mov_b64 s[14:15], 0
.LBB2_90:                               ;   Parent Loop BB2_13 Depth=1
                                        ;     Parent Loop BB2_27 Depth=2
                                        ;       Parent Loop BB2_41 Depth=3
                                        ;         Parent Loop BB2_71 Depth=4
                                        ; =>        This Inner Loop Header: Depth=5
	s_add_u32 s18, s12, s14
	s_addc_u32 s19, s13, s15
	global_load_ubyte v3, v47, s[18:19]
	s_add_u32 s14, s14, 1
	s_addc_u32 s15, s15, 0
	s_waitcnt vmcnt(0)
	v_and_b32_e32 v46, 0xffff, v3
	v_lshlrev_b64 v[14:15], s0, v[46:47]
	s_add_u32 s0, s0, 8
	s_addc_u32 s1, s1, 0
	v_or_b32_e32 v12, v14, v12
	s_cmp_lg_u32 s17, s14
	v_or_b32_e32 v13, v15, v13
	s_cbranch_scc1 .LBB2_90
	s_branch .LBB2_93
.LBB2_91:                               ;   in Loop: Header=BB2_71 Depth=4
	s_mov_b32 s16, 0
	s_branch .LBB2_94
.LBB2_92:                               ;   in Loop: Header=BB2_71 Depth=4
	v_mov_b64_e32 v[12:13], 0
.LBB2_93:                               ;   in Loop: Header=BB2_71 Depth=4
	s_mov_b64 s[0:1], s[12:13]
	s_mov_b32 s16, 0
	s_cbranch_execnz .LBB2_95
.LBB2_94:                               ;   in Loop: Header=BB2_71 Depth=4
	global_load_dwordx2 v[12:13], v47, s[12:13]
	s_add_i32 s16, s17, -8
.LBB2_95:                               ;   in Loop: Header=BB2_71 Depth=4
	s_add_u32 s12, s0, 8
	s_addc_u32 s13, s1, 0
	s_cmp_gt_u32 s16, 7
	s_cbranch_scc1 .LBB2_99
; %bb.96:                               ;   in Loop: Header=BB2_71 Depth=4
	s_cmp_eq_u32 s16, 0
	s_cbranch_scc1 .LBB2_100
; %bb.97:                               ;   in Loop: Header=BB2_71 Depth=4
	s_mov_b64 s[12:13], 0
	v_mov_b64_e32 v[14:15], 0
	s_mov_b64 s[14:15], 0
.LBB2_98:                               ;   Parent Loop BB2_13 Depth=1
                                        ;     Parent Loop BB2_27 Depth=2
                                        ;       Parent Loop BB2_41 Depth=3
                                        ;         Parent Loop BB2_71 Depth=4
                                        ; =>        This Inner Loop Header: Depth=5
	s_add_u32 s18, s0, s14
	s_addc_u32 s19, s1, s15
	global_load_ubyte v3, v47, s[18:19]
	s_add_u32 s14, s14, 1
	s_addc_u32 s15, s15, 0
	s_waitcnt vmcnt(0)
	v_and_b32_e32 v46, 0xffff, v3
	v_lshlrev_b64 v[16:17], s12, v[46:47]
	s_add_u32 s12, s12, 8
	s_addc_u32 s13, s13, 0
	v_or_b32_e32 v14, v16, v14
	s_cmp_lg_u32 s16, s14
	v_or_b32_e32 v15, v17, v15
	s_cbranch_scc1 .LBB2_98
	s_branch .LBB2_101
.LBB2_99:                               ;   in Loop: Header=BB2_71 Depth=4
                                        ; implicit-def: $vgpr14_vgpr15
	s_mov_b32 s17, 0
	s_branch .LBB2_102
.LBB2_100:                              ;   in Loop: Header=BB2_71 Depth=4
	v_mov_b64_e32 v[14:15], 0
.LBB2_101:                              ;   in Loop: Header=BB2_71 Depth=4
	s_mov_b64 s[12:13], s[0:1]
	s_mov_b32 s17, 0
	s_cbranch_execnz .LBB2_103
.LBB2_102:                              ;   in Loop: Header=BB2_71 Depth=4
	global_load_dwordx2 v[14:15], v47, s[0:1]
	s_add_i32 s17, s16, -8
.LBB2_103:                              ;   in Loop: Header=BB2_71 Depth=4
	s_add_u32 s0, s12, 8
	s_addc_u32 s1, s13, 0
	s_cmp_gt_u32 s17, 7
	s_cbranch_scc1 .LBB2_107
; %bb.104:                              ;   in Loop: Header=BB2_71 Depth=4
	s_cmp_eq_u32 s17, 0
	s_cbranch_scc1 .LBB2_108
; %bb.105:                              ;   in Loop: Header=BB2_71 Depth=4
	s_mov_b64 s[0:1], 0
	v_mov_b64_e32 v[16:17], 0
	s_mov_b64 s[14:15], 0
.LBB2_106:                              ;   Parent Loop BB2_13 Depth=1
                                        ;     Parent Loop BB2_27 Depth=2
                                        ;       Parent Loop BB2_41 Depth=3
                                        ;         Parent Loop BB2_71 Depth=4
                                        ; =>        This Inner Loop Header: Depth=5
	s_add_u32 s18, s12, s14
	s_addc_u32 s19, s13, s15
	global_load_ubyte v3, v47, s[18:19]
	s_add_u32 s14, s14, 1
	s_addc_u32 s15, s15, 0
	s_waitcnt vmcnt(0)
	v_and_b32_e32 v46, 0xffff, v3
	v_lshlrev_b64 v[18:19], s0, v[46:47]
	s_add_u32 s0, s0, 8
	s_addc_u32 s1, s1, 0
	v_or_b32_e32 v16, v18, v16
	s_cmp_lg_u32 s17, s14
	v_or_b32_e32 v17, v19, v17
	s_cbranch_scc1 .LBB2_106
	s_branch .LBB2_109
.LBB2_107:                              ;   in Loop: Header=BB2_71 Depth=4
	s_mov_b32 s16, 0
	s_branch .LBB2_110
.LBB2_108:                              ;   in Loop: Header=BB2_71 Depth=4
	v_mov_b64_e32 v[16:17], 0
.LBB2_109:                              ;   in Loop: Header=BB2_71 Depth=4
	s_mov_b64 s[0:1], s[12:13]
	s_mov_b32 s16, 0
	s_cbranch_execnz .LBB2_111
.LBB2_110:                              ;   in Loop: Header=BB2_71 Depth=4
	global_load_dwordx2 v[16:17], v47, s[12:13]
	s_add_i32 s16, s17, -8
.LBB2_111:                              ;   in Loop: Header=BB2_71 Depth=4
	s_add_u32 s12, s0, 8
	s_addc_u32 s13, s1, 0
	s_cmp_gt_u32 s16, 7
	s_cbranch_scc1 .LBB2_115
; %bb.112:                              ;   in Loop: Header=BB2_71 Depth=4
	s_cmp_eq_u32 s16, 0
	s_cbranch_scc1 .LBB2_116
; %bb.113:                              ;   in Loop: Header=BB2_71 Depth=4
	s_mov_b64 s[12:13], 0
	v_mov_b64_e32 v[18:19], 0
	s_mov_b64 s[14:15], 0
.LBB2_114:                              ;   Parent Loop BB2_13 Depth=1
                                        ;     Parent Loop BB2_27 Depth=2
                                        ;       Parent Loop BB2_41 Depth=3
                                        ;         Parent Loop BB2_71 Depth=4
                                        ; =>        This Inner Loop Header: Depth=5
	s_add_u32 s18, s0, s14
	s_addc_u32 s19, s1, s15
	global_load_ubyte v3, v47, s[18:19]
	s_add_u32 s14, s14, 1
	s_addc_u32 s15, s15, 0
	s_waitcnt vmcnt(0)
	v_and_b32_e32 v46, 0xffff, v3
	v_lshlrev_b64 v[20:21], s12, v[46:47]
	s_add_u32 s12, s12, 8
	s_addc_u32 s13, s13, 0
	v_or_b32_e32 v18, v20, v18
	s_cmp_lg_u32 s16, s14
	v_or_b32_e32 v19, v21, v19
	s_cbranch_scc1 .LBB2_114
	s_branch .LBB2_117
.LBB2_115:                              ;   in Loop: Header=BB2_71 Depth=4
                                        ; implicit-def: $vgpr18_vgpr19
	s_mov_b32 s17, 0
	s_branch .LBB2_118
.LBB2_116:                              ;   in Loop: Header=BB2_71 Depth=4
	v_mov_b64_e32 v[18:19], 0
.LBB2_117:                              ;   in Loop: Header=BB2_71 Depth=4
	s_mov_b64 s[12:13], s[0:1]
	s_mov_b32 s17, 0
	s_cbranch_execnz .LBB2_119
.LBB2_118:                              ;   in Loop: Header=BB2_71 Depth=4
	global_load_dwordx2 v[18:19], v47, s[0:1]
	s_add_i32 s17, s16, -8
.LBB2_119:                              ;   in Loop: Header=BB2_71 Depth=4
	s_cmp_gt_u32 s17, 7
	s_cbranch_scc1 .LBB2_123
; %bb.120:                              ;   in Loop: Header=BB2_71 Depth=4
	s_cmp_eq_u32 s17, 0
	s_cbranch_scc1 .LBB2_124
; %bb.121:                              ;   in Loop: Header=BB2_71 Depth=4
	s_mov_b64 s[0:1], 0
	v_mov_b64_e32 v[20:21], 0
	s_mov_b64 s[14:15], s[12:13]
.LBB2_122:                              ;   Parent Loop BB2_13 Depth=1
                                        ;     Parent Loop BB2_27 Depth=2
                                        ;       Parent Loop BB2_41 Depth=3
                                        ;         Parent Loop BB2_71 Depth=4
                                        ; =>        This Inner Loop Header: Depth=5
	global_load_ubyte v3, v47, s[14:15]
	s_add_i32 s17, s17, -1
	s_waitcnt vmcnt(0)
	v_and_b32_e32 v46, 0xffff, v3
	v_lshlrev_b64 v[22:23], s0, v[46:47]
	s_add_u32 s0, s0, 8
	s_addc_u32 s1, s1, 0
	s_add_u32 s14, s14, 1
	s_addc_u32 s15, s15, 0
	v_or_b32_e32 v20, v22, v20
	s_cmp_lg_u32 s17, 0
	v_or_b32_e32 v21, v23, v21
	s_cbranch_scc1 .LBB2_122
	s_branch .LBB2_125
.LBB2_123:                              ;   in Loop: Header=BB2_71 Depth=4
	s_branch .LBB2_126
.LBB2_124:                              ;   in Loop: Header=BB2_71 Depth=4
	v_mov_b64_e32 v[20:21], 0
.LBB2_125:                              ;   in Loop: Header=BB2_71 Depth=4
	s_cbranch_execnz .LBB2_127
.LBB2_126:                              ;   in Loop: Header=BB2_71 Depth=4
	global_load_dwordx2 v[20:21], v47, s[12:13]
.LBB2_127:                              ;   in Loop: Header=BB2_71 Depth=4
	v_readfirstlane_b32 s0, v105
	v_mov_b64_e32 v[28:29], 0
	s_nop 0
	v_cmp_eq_u32_e64 s[0:1], s0, v105
	s_and_saveexec_b64 s[12:13], s[0:1]
	s_cbranch_execz .LBB2_133
; %bb.128:                              ;   in Loop: Header=BB2_71 Depth=4
	global_load_dwordx2 v[24:25], v47, s[4:5] offset:24 sc0 sc1
	s_waitcnt vmcnt(0)
	buffer_inv sc0 sc1
	global_load_dwordx2 v[22:23], v47, s[4:5] offset:40
	global_load_dwordx2 v[28:29], v47, s[4:5]
	s_waitcnt vmcnt(1)
	v_and_b32_e32 v3, v22, v24
	v_and_b32_e32 v5, v23, v25
	v_mul_lo_u32 v5, v5, 24
	v_mul_hi_u32 v22, v3, 24
	v_add_u32_e32 v23, v22, v5
	v_mul_lo_u32 v22, v3, 24
	s_waitcnt vmcnt(0)
	v_lshl_add_u64 v[22:23], v[28:29], 0, v[22:23]
	global_load_dwordx2 v[22:23], v[22:23], off sc0 sc1
	s_waitcnt vmcnt(0)
	global_atomic_cmpswap_x2 v[28:29], v47, v[22:25], s[4:5] offset:24 sc0 sc1
	s_waitcnt vmcnt(0)
	buffer_inv sc0 sc1
	v_cmp_ne_u64_e32 vcc, v[28:29], v[24:25]
	s_and_saveexec_b64 s[14:15], vcc
	s_cbranch_execz .LBB2_132
; %bb.129:                              ;   in Loop: Header=BB2_71 Depth=4
	s_mov_b64 s[16:17], 0
.LBB2_130:                              ;   Parent Loop BB2_13 Depth=1
                                        ;     Parent Loop BB2_27 Depth=2
                                        ;       Parent Loop BB2_41 Depth=3
                                        ;         Parent Loop BB2_71 Depth=4
                                        ; =>        This Inner Loop Header: Depth=5
	s_sleep 1
	global_load_dwordx2 v[22:23], v47, s[4:5] offset:40
	global_load_dwordx2 v[30:31], v47, s[4:5]
	v_mov_b64_e32 v[24:25], v[28:29]
	s_waitcnt vmcnt(1)
	v_and_b32_e32 v5, v22, v24
	v_and_b32_e32 v3, v23, v25
	s_waitcnt vmcnt(0)
	v_mad_u64_u32 v[22:23], s[18:19], v5, 24, v[30:31]
	v_mov_b32_e32 v28, v23
	v_mad_u64_u32 v[28:29], s[18:19], v3, 24, v[28:29]
	v_mov_b32_e32 v23, v28
	global_load_dwordx2 v[22:23], v[22:23], off sc0 sc1
	s_waitcnt vmcnt(0)
	global_atomic_cmpswap_x2 v[28:29], v47, v[22:25], s[4:5] offset:24 sc0 sc1
	s_waitcnt vmcnt(0)
	buffer_inv sc0 sc1
	v_cmp_eq_u64_e32 vcc, v[28:29], v[24:25]
	s_or_b64 s[16:17], vcc, s[16:17]
	s_andn2_b64 exec, exec, s[16:17]
	s_cbranch_execnz .LBB2_130
; %bb.131:                              ;   in Loop: Header=BB2_71 Depth=4
	s_or_b64 exec, exec, s[16:17]
.LBB2_132:                              ;   in Loop: Header=BB2_71 Depth=4
	s_or_b64 exec, exec, s[14:15]
.LBB2_133:                              ;   in Loop: Header=BB2_71 Depth=4
	s_or_b64 exec, exec, s[12:13]
	global_load_dwordx2 v[30:31], v47, s[4:5] offset:40
	global_load_dwordx4 v[22:25], v47, s[4:5]
	v_readfirstlane_b32 s13, v29
	v_readfirstlane_b32 s12, v28
	s_mov_b64 s[14:15], exec
	s_waitcnt vmcnt(1)
	v_readfirstlane_b32 s16, v30
	v_readfirstlane_b32 s17, v31
	s_and_b64 s[16:17], s[16:17], s[12:13]
	s_mul_i32 s18, s17, 24
	s_mul_hi_u32 s19, s16, 24
	s_add_i32 s19, s19, s18
	s_mul_i32 s18, s16, 24
	s_waitcnt vmcnt(0)
	v_lshl_add_u64 v[28:29], v[22:23], 0, s[18:19]
	s_and_saveexec_b64 s[18:19], s[0:1]
	s_cbranch_execz .LBB2_135
; %bb.134:                              ;   in Loop: Header=BB2_71 Depth=4
	v_mov_b64_e32 v[56:57], s[14:15]
	global_store_dwordx4 v[28:29], v[56:59], off offset:8
.LBB2_135:                              ;   in Loop: Header=BB2_71 Depth=4
	s_or_b64 exec, exec, s[18:19]
	s_lshl_b64 s[14:15], s[16:17], 12
	v_lshl_add_u64 v[24:25], v[24:25], 0, s[14:15]
	v_cmp_gt_u64_e64 s[14:15], s[8:9], 56
	s_and_b64 s[14:15], s[14:15], exec
	s_cselect_b32 s14, 0, 2
	s_lshl_b32 s15, s10, 2
	s_add_i32 s15, s15, 28
	v_and_b32_e32 v3, 0xffffff1f, v6
	s_and_b32 s15, s15, 0x1e0
	v_or_b32_e32 v3, s14, v3
	v_or_b32_e32 v6, s15, v3
	v_readfirstlane_b32 s14, v24
	v_readfirstlane_b32 s15, v25
	s_nop 4
	global_store_dwordx4 v26, v[6:9], s[14:15]
	global_store_dwordx4 v26, v[10:13], s[14:15] offset:16
	global_store_dwordx4 v26, v[14:17], s[14:15] offset:32
	;; [unrolled: 1-line block ×3, first 2 shown]
	s_and_saveexec_b64 s[14:15], s[0:1]
	s_cbranch_execz .LBB2_143
; %bb.136:                              ;   in Loop: Header=BB2_71 Depth=4
	global_load_dwordx2 v[14:15], v47, s[4:5] offset:32 sc0 sc1
	global_load_dwordx2 v[6:7], v47, s[4:5] offset:40
	v_mov_b32_e32 v12, s12
	v_mov_b32_e32 v13, s13
	s_waitcnt vmcnt(0)
	v_readfirstlane_b32 s16, v6
	v_readfirstlane_b32 s17, v7
	s_and_b64 s[16:17], s[16:17], s[12:13]
	s_mul_i32 s17, s17, 24
	s_mul_hi_u32 s18, s16, 24
	s_mul_i32 s16, s16, 24
	s_add_i32 s17, s18, s17
	v_lshl_add_u64 v[10:11], v[22:23], 0, s[16:17]
	global_store_dwordx2 v[10:11], v[14:15], off
	buffer_wbl2 sc0 sc1
	s_waitcnt vmcnt(0)
	global_atomic_cmpswap_x2 v[8:9], v47, v[12:15], s[4:5] offset:32 sc0 sc1
	s_waitcnt vmcnt(0)
	v_cmp_ne_u64_e32 vcc, v[8:9], v[14:15]
	s_and_saveexec_b64 s[16:17], vcc
	s_cbranch_execz .LBB2_139
; %bb.137:                              ;   in Loop: Header=BB2_71 Depth=4
	s_mov_b64 s[18:19], 0
.LBB2_138:                              ;   Parent Loop BB2_13 Depth=1
                                        ;     Parent Loop BB2_27 Depth=2
                                        ;       Parent Loop BB2_41 Depth=3
                                        ;         Parent Loop BB2_71 Depth=4
                                        ; =>        This Inner Loop Header: Depth=5
	s_sleep 1
	global_store_dwordx2 v[10:11], v[8:9], off
	v_mov_b32_e32 v6, s12
	v_mov_b32_e32 v7, s13
	buffer_wbl2 sc0 sc1
	s_waitcnt vmcnt(0)
	global_atomic_cmpswap_x2 v[6:7], v47, v[6:9], s[4:5] offset:32 sc0 sc1
	s_waitcnt vmcnt(0)
	v_cmp_eq_u64_e32 vcc, v[6:7], v[8:9]
	s_or_b64 s[18:19], vcc, s[18:19]
	v_mov_b64_e32 v[8:9], v[6:7]
	s_andn2_b64 exec, exec, s[18:19]
	s_cbranch_execnz .LBB2_138
.LBB2_139:                              ;   in Loop: Header=BB2_71 Depth=4
	s_or_b64 exec, exec, s[16:17]
	global_load_dwordx2 v[6:7], v47, s[4:5] offset:16
	s_mov_b64 s[18:19], exec
	v_mbcnt_lo_u32_b32 v3, s18, 0
	v_mbcnt_hi_u32_b32 v3, s19, v3
	v_cmp_eq_u32_e32 vcc, 0, v3
	s_and_saveexec_b64 s[16:17], vcc
	s_cbranch_execz .LBB2_141
; %bb.140:                              ;   in Loop: Header=BB2_71 Depth=4
	s_bcnt1_i32_b64 s18, s[18:19]
	v_mov_b32_e32 v46, s18
	buffer_wbl2 sc0 sc1
	s_waitcnt vmcnt(0)
	global_atomic_add_x2 v[6:7], v[46:47], off offset:8 sc1
.LBB2_141:                              ;   in Loop: Header=BB2_71 Depth=4
	s_or_b64 exec, exec, s[16:17]
	s_waitcnt vmcnt(0)
	global_load_dwordx2 v[8:9], v[6:7], off offset:16
	s_waitcnt vmcnt(0)
	v_cmp_eq_u64_e32 vcc, 0, v[8:9]
	s_cbranch_vccnz .LBB2_143
; %bb.142:                              ;   in Loop: Header=BB2_71 Depth=4
	global_load_dword v46, v[6:7], off offset:24
	s_waitcnt vmcnt(0)
	v_readfirstlane_b32 s16, v46
	s_and_b32 m0, s16, 0xffffff
	buffer_wbl2 sc0 sc1
	global_store_dwordx2 v[8:9], v[46:47], off sc0 sc1
	s_sendmsg sendmsg(MSG_INTERRUPT)
.LBB2_143:                              ;   in Loop: Header=BB2_71 Depth=4
	s_or_b64 exec, exec, s[14:15]
	v_mov_b32_e32 v27, v47
	v_lshl_add_u64 v[6:7], v[24:25], 0, v[26:27]
	s_branch .LBB2_147
.LBB2_144:                              ;   in Loop: Header=BB2_147 Depth=5
	s_or_b64 exec, exec, s[14:15]
	v_readfirstlane_b32 s14, v3
	s_cmp_eq_u32 s14, 0
	s_cbranch_scc1 .LBB2_146
; %bb.145:                              ;   in Loop: Header=BB2_147 Depth=5
	s_sleep 1
	s_cbranch_execnz .LBB2_147
	s_branch .LBB2_149
.LBB2_146:                              ;   in Loop: Header=BB2_71 Depth=4
	s_branch .LBB2_149
.LBB2_147:                              ;   Parent Loop BB2_13 Depth=1
                                        ;     Parent Loop BB2_27 Depth=2
                                        ;       Parent Loop BB2_41 Depth=3
                                        ;         Parent Loop BB2_71 Depth=4
                                        ; =>        This Inner Loop Header: Depth=5
	v_mov_b32_e32 v3, 1
	s_and_saveexec_b64 s[14:15], s[0:1]
	s_cbranch_execz .LBB2_144
; %bb.148:                              ;   in Loop: Header=BB2_147 Depth=5
	global_load_dword v3, v[28:29], off offset:20 sc0 sc1
	s_waitcnt vmcnt(0)
	buffer_inv sc0 sc1
	v_and_b32_e32 v3, 1, v3
	s_branch .LBB2_144
.LBB2_149:                              ;   in Loop: Header=BB2_71 Depth=4
	global_load_dwordx4 v[6:9], v[6:7], off
	s_and_saveexec_b64 s[14:15], s[0:1]
	s_cbranch_execz .LBB2_70
; %bb.150:                              ;   in Loop: Header=BB2_71 Depth=4
	global_load_dwordx2 v[8:9], v47, s[4:5] offset:40
	global_load_dwordx2 v[16:17], v47, s[4:5] offset:24 sc0 sc1
	global_load_dwordx2 v[10:11], v47, s[4:5]
	s_waitcnt vmcnt(2)
	v_readfirstlane_b32 s16, v8
	v_readfirstlane_b32 s17, v9
	s_add_u32 s18, s16, 1
	s_addc_u32 s19, s17, 0
	s_add_u32 s0, s18, s12
	s_addc_u32 s1, s19, s13
	s_cmp_eq_u64 s[0:1], 0
	s_cselect_b32 s1, s19, s1
	s_cselect_b32 s0, s18, s0
	s_and_b64 s[12:13], s[0:1], s[16:17]
	s_mul_i32 s13, s13, 24
	s_mul_hi_u32 s16, s12, 24
	s_mul_i32 s12, s12, 24
	s_add_i32 s13, s16, s13
	s_waitcnt vmcnt(0)
	v_lshl_add_u64 v[12:13], v[10:11], 0, s[12:13]
	v_mov_b32_e32 v14, s0
	global_store_dwordx2 v[12:13], v[16:17], off
	v_mov_b32_e32 v15, s1
	buffer_wbl2 sc0 sc1
	s_waitcnt vmcnt(0)
	global_atomic_cmpswap_x2 v[10:11], v47, v[14:17], s[4:5] offset:24 sc0 sc1
	s_waitcnt vmcnt(0)
	v_cmp_ne_u64_e32 vcc, v[10:11], v[16:17]
	s_and_b64 exec, exec, vcc
	s_cbranch_execz .LBB2_70
; %bb.151:                              ;   in Loop: Header=BB2_71 Depth=4
	s_mov_b64 s[12:13], 0
.LBB2_152:                              ;   Parent Loop BB2_13 Depth=1
                                        ;     Parent Loop BB2_27 Depth=2
                                        ;       Parent Loop BB2_41 Depth=3
                                        ;         Parent Loop BB2_71 Depth=4
                                        ; =>        This Inner Loop Header: Depth=5
	s_sleep 1
	global_store_dwordx2 v[12:13], v[10:11], off
	v_mov_b32_e32 v8, s0
	v_mov_b32_e32 v9, s1
	buffer_wbl2 sc0 sc1
	s_waitcnt vmcnt(0)
	global_atomic_cmpswap_x2 v[8:9], v47, v[8:11], s[4:5] offset:24 sc0 sc1
	s_waitcnt vmcnt(0)
	v_cmp_eq_u64_e32 vcc, v[8:9], v[10:11]
	s_or_b64 s[12:13], vcc, s[12:13]
	v_mov_b64_e32 v[10:11], v[8:9]
	s_andn2_b64 exec, exec, s[12:13]
	s_cbranch_execnz .LBB2_152
	s_branch .LBB2_70
.LBB2_153:                              ;   in Loop: Header=BB2_41 Depth=3
	s_branch .LBB2_181
.LBB2_154:                              ;   in Loop: Header=BB2_41 Depth=3
	s_cbranch_execz .LBB2_181
; %bb.155:                              ;   in Loop: Header=BB2_41 Depth=3
	v_readfirstlane_b32 s0, v105
	v_mov_b64_e32 v[10:11], 0
	s_nop 0
	v_cmp_eq_u32_e64 s[0:1], s0, v105
	s_and_saveexec_b64 s[6:7], s[0:1]
	s_cbranch_execz .LBB2_161
; %bb.156:                              ;   in Loop: Header=BB2_41 Depth=3
	global_load_dwordx2 v[8:9], v47, s[4:5] offset:24 sc0 sc1
	s_waitcnt vmcnt(0)
	buffer_inv sc0 sc1
	global_load_dwordx2 v[6:7], v47, s[4:5] offset:40
	global_load_dwordx2 v[10:11], v47, s[4:5]
	s_waitcnt vmcnt(1)
	v_and_b32_e32 v3, v6, v8
	v_and_b32_e32 v5, v7, v9
	v_mul_lo_u32 v5, v5, 24
	v_mul_hi_u32 v6, v3, 24
	v_add_u32_e32 v7, v6, v5
	v_mul_lo_u32 v6, v3, 24
	s_waitcnt vmcnt(0)
	v_lshl_add_u64 v[6:7], v[10:11], 0, v[6:7]
	global_load_dwordx2 v[6:7], v[6:7], off sc0 sc1
	s_waitcnt vmcnt(0)
	global_atomic_cmpswap_x2 v[10:11], v47, v[6:9], s[4:5] offset:24 sc0 sc1
	s_waitcnt vmcnt(0)
	buffer_inv sc0 sc1
	v_cmp_ne_u64_e32 vcc, v[10:11], v[8:9]
	s_and_saveexec_b64 s[8:9], vcc
	s_cbranch_execz .LBB2_160
; %bb.157:                              ;   in Loop: Header=BB2_41 Depth=3
	s_mov_b64 s[10:11], 0
.LBB2_158:                              ;   Parent Loop BB2_13 Depth=1
                                        ;     Parent Loop BB2_27 Depth=2
                                        ;       Parent Loop BB2_41 Depth=3
                                        ; =>      This Inner Loop Header: Depth=4
	s_sleep 1
	global_load_dwordx2 v[6:7], v47, s[4:5] offset:40
	global_load_dwordx2 v[12:13], v47, s[4:5]
	v_mov_b64_e32 v[8:9], v[10:11]
	s_waitcnt vmcnt(1)
	v_and_b32_e32 v5, v6, v8
	v_and_b32_e32 v3, v7, v9
	s_waitcnt vmcnt(0)
	v_mad_u64_u32 v[6:7], s[12:13], v5, 24, v[12:13]
	v_mov_b32_e32 v10, v7
	v_mad_u64_u32 v[10:11], s[12:13], v3, 24, v[10:11]
	v_mov_b32_e32 v7, v10
	global_load_dwordx2 v[6:7], v[6:7], off sc0 sc1
	s_waitcnt vmcnt(0)
	global_atomic_cmpswap_x2 v[10:11], v47, v[6:9], s[4:5] offset:24 sc0 sc1
	s_waitcnt vmcnt(0)
	buffer_inv sc0 sc1
	v_cmp_eq_u64_e32 vcc, v[10:11], v[8:9]
	s_or_b64 s[10:11], vcc, s[10:11]
	s_andn2_b64 exec, exec, s[10:11]
	s_cbranch_execnz .LBB2_158
; %bb.159:                              ;   in Loop: Header=BB2_41 Depth=3
	s_or_b64 exec, exec, s[10:11]
.LBB2_160:                              ;   in Loop: Header=BB2_41 Depth=3
	s_or_b64 exec, exec, s[8:9]
.LBB2_161:                              ;   in Loop: Header=BB2_41 Depth=3
	s_or_b64 exec, exec, s[6:7]
	global_load_dwordx2 v[12:13], v47, s[4:5] offset:40
	global_load_dwordx4 v[6:9], v47, s[4:5]
	v_readfirstlane_b32 s7, v11
	v_readfirstlane_b32 s6, v10
	s_mov_b64 s[8:9], exec
	s_waitcnt vmcnt(1)
	v_readfirstlane_b32 s10, v12
	v_readfirstlane_b32 s11, v13
	s_and_b64 s[10:11], s[10:11], s[6:7]
	s_mul_i32 s12, s11, 24
	s_mul_hi_u32 s13, s10, 24
	s_add_i32 s13, s13, s12
	s_mul_i32 s12, s10, 24
	s_waitcnt vmcnt(0)
	v_lshl_add_u64 v[10:11], v[6:7], 0, s[12:13]
	s_and_saveexec_b64 s[12:13], s[0:1]
	s_cbranch_execz .LBB2_163
; %bb.162:                              ;   in Loop: Header=BB2_41 Depth=3
	v_mov_b64_e32 v[56:57], s[8:9]
	global_store_dwordx4 v[10:11], v[56:59], off offset:8
.LBB2_163:                              ;   in Loop: Header=BB2_41 Depth=3
	s_or_b64 exec, exec, s[12:13]
	s_lshl_b64 s[8:9], s[10:11], 12
	s_mov_b32 s57, s56
	v_lshl_add_u64 v[8:9], v[8:9], 0, s[8:9]
	s_mov_b32 s58, s56
	s_mov_b32 s59, s56
	v_mov_b64_e32 v[12:13], s[56:57]
	v_and_or_b32 v44, v44, s90, 34
	v_mov_b32_e32 v46, v47
	v_readfirstlane_b32 s8, v8
	v_readfirstlane_b32 s9, v9
	v_mov_b64_e32 v[14:15], s[58:59]
	s_nop 3
	global_store_dwordx4 v26, v[44:47], s[8:9]
	global_store_dwordx4 v26, v[12:15], s[8:9] offset:16
	global_store_dwordx4 v26, v[12:15], s[8:9] offset:32
	;; [unrolled: 1-line block ×3, first 2 shown]
	s_and_saveexec_b64 s[8:9], s[0:1]
	s_cbranch_execz .LBB2_171
; %bb.164:                              ;   in Loop: Header=BB2_41 Depth=3
	global_load_dwordx2 v[16:17], v47, s[4:5] offset:32 sc0 sc1
	global_load_dwordx2 v[8:9], v47, s[4:5] offset:40
	v_mov_b32_e32 v14, s6
	v_mov_b32_e32 v15, s7
	s_waitcnt vmcnt(0)
	v_readfirstlane_b32 s10, v8
	v_readfirstlane_b32 s11, v9
	s_and_b64 s[10:11], s[10:11], s[6:7]
	s_mul_i32 s11, s11, 24
	s_mul_hi_u32 s12, s10, 24
	s_mul_i32 s10, s10, 24
	s_add_i32 s11, s12, s11
	v_lshl_add_u64 v[12:13], v[6:7], 0, s[10:11]
	global_store_dwordx2 v[12:13], v[16:17], off
	buffer_wbl2 sc0 sc1
	s_waitcnt vmcnt(0)
	global_atomic_cmpswap_x2 v[8:9], v47, v[14:17], s[4:5] offset:32 sc0 sc1
	s_waitcnt vmcnt(0)
	v_cmp_ne_u64_e32 vcc, v[8:9], v[16:17]
	s_and_saveexec_b64 s[10:11], vcc
	s_cbranch_execz .LBB2_167
; %bb.165:                              ;   in Loop: Header=BB2_41 Depth=3
	s_mov_b64 s[12:13], 0
.LBB2_166:                              ;   Parent Loop BB2_13 Depth=1
                                        ;     Parent Loop BB2_27 Depth=2
                                        ;       Parent Loop BB2_41 Depth=3
                                        ; =>      This Inner Loop Header: Depth=4
	s_sleep 1
	global_store_dwordx2 v[12:13], v[8:9], off
	v_mov_b32_e32 v6, s6
	v_mov_b32_e32 v7, s7
	buffer_wbl2 sc0 sc1
	s_waitcnt vmcnt(0)
	global_atomic_cmpswap_x2 v[6:7], v47, v[6:9], s[4:5] offset:32 sc0 sc1
	s_waitcnt vmcnt(0)
	v_cmp_eq_u64_e32 vcc, v[6:7], v[8:9]
	s_or_b64 s[12:13], vcc, s[12:13]
	v_mov_b64_e32 v[8:9], v[6:7]
	s_andn2_b64 exec, exec, s[12:13]
	s_cbranch_execnz .LBB2_166
.LBB2_167:                              ;   in Loop: Header=BB2_41 Depth=3
	s_or_b64 exec, exec, s[10:11]
	global_load_dwordx2 v[6:7], v47, s[4:5] offset:16
	s_mov_b64 s[12:13], exec
	v_mbcnt_lo_u32_b32 v3, s12, 0
	v_mbcnt_hi_u32_b32 v3, s13, v3
	v_cmp_eq_u32_e32 vcc, 0, v3
	s_and_saveexec_b64 s[10:11], vcc
	s_cbranch_execz .LBB2_169
; %bb.168:                              ;   in Loop: Header=BB2_41 Depth=3
	s_bcnt1_i32_b64 s12, s[12:13]
	v_mov_b32_e32 v46, s12
	buffer_wbl2 sc0 sc1
	s_waitcnt vmcnt(0)
	global_atomic_add_x2 v[6:7], v[46:47], off offset:8 sc1
.LBB2_169:                              ;   in Loop: Header=BB2_41 Depth=3
	s_or_b64 exec, exec, s[10:11]
	s_waitcnt vmcnt(0)
	global_load_dwordx2 v[8:9], v[6:7], off offset:16
	s_waitcnt vmcnt(0)
	v_cmp_eq_u64_e32 vcc, 0, v[8:9]
	s_cbranch_vccnz .LBB2_171
; %bb.170:                              ;   in Loop: Header=BB2_41 Depth=3
	global_load_dword v46, v[6:7], off offset:24
	s_waitcnt vmcnt(0)
	v_readfirstlane_b32 s10, v46
	s_and_b32 m0, s10, 0xffffff
	buffer_wbl2 sc0 sc1
	global_store_dwordx2 v[8:9], v[46:47], off sc0 sc1
	s_sendmsg sendmsg(MSG_INTERRUPT)
.LBB2_171:                              ;   in Loop: Header=BB2_41 Depth=3
	s_or_b64 exec, exec, s[8:9]
	s_branch .LBB2_175
.LBB2_172:                              ;   in Loop: Header=BB2_175 Depth=4
	s_or_b64 exec, exec, s[8:9]
	v_readfirstlane_b32 s8, v3
	s_cmp_eq_u32 s8, 0
	s_cbranch_scc1 .LBB2_174
; %bb.173:                              ;   in Loop: Header=BB2_175 Depth=4
	s_sleep 1
	s_cbranch_execnz .LBB2_175
	s_branch .LBB2_177
.LBB2_174:                              ;   in Loop: Header=BB2_41 Depth=3
	s_branch .LBB2_177
.LBB2_175:                              ;   Parent Loop BB2_13 Depth=1
                                        ;     Parent Loop BB2_27 Depth=2
                                        ;       Parent Loop BB2_41 Depth=3
                                        ; =>      This Inner Loop Header: Depth=4
	v_mov_b32_e32 v3, 1
	s_and_saveexec_b64 s[8:9], s[0:1]
	s_cbranch_execz .LBB2_172
; %bb.176:                              ;   in Loop: Header=BB2_175 Depth=4
	global_load_dword v3, v[10:11], off offset:20 sc0 sc1
	s_waitcnt vmcnt(0)
	buffer_inv sc0 sc1
	v_and_b32_e32 v3, 1, v3
	s_branch .LBB2_172
.LBB2_177:                              ;   in Loop: Header=BB2_41 Depth=3
	s_and_b64 exec, exec, s[0:1]
	s_cbranch_execz .LBB2_181
; %bb.178:                              ;   in Loop: Header=BB2_41 Depth=3
	global_load_dwordx2 v[6:7], v47, s[4:5] offset:40
	global_load_dwordx2 v[14:15], v47, s[4:5] offset:24 sc0 sc1
	global_load_dwordx2 v[8:9], v47, s[4:5]
	s_waitcnt vmcnt(2)
	v_readfirstlane_b32 s8, v6
	v_readfirstlane_b32 s9, v7
	s_add_u32 s10, s8, 1
	s_addc_u32 s11, s9, 0
	s_add_u32 s0, s10, s6
	s_addc_u32 s1, s11, s7
	s_cmp_eq_u64 s[0:1], 0
	s_cselect_b32 s1, s11, s1
	s_cselect_b32 s0, s10, s0
	s_and_b64 s[6:7], s[0:1], s[8:9]
	s_mul_i32 s7, s7, 24
	s_mul_hi_u32 s8, s6, 24
	s_mul_i32 s6, s6, 24
	s_add_i32 s7, s8, s7
	s_waitcnt vmcnt(0)
	v_lshl_add_u64 v[10:11], v[8:9], 0, s[6:7]
	v_mov_b32_e32 v12, s0
	global_store_dwordx2 v[10:11], v[14:15], off
	v_mov_b32_e32 v13, s1
	buffer_wbl2 sc0 sc1
	s_waitcnt vmcnt(0)
	global_atomic_cmpswap_x2 v[8:9], v47, v[12:15], s[4:5] offset:24 sc0 sc1
	s_waitcnt vmcnt(0)
	v_cmp_ne_u64_e32 vcc, v[8:9], v[14:15]
	s_and_b64 exec, exec, vcc
	s_cbranch_execz .LBB2_181
; %bb.179:                              ;   in Loop: Header=BB2_41 Depth=3
	s_mov_b64 s[6:7], 0
.LBB2_180:                              ;   Parent Loop BB2_13 Depth=1
                                        ;     Parent Loop BB2_27 Depth=2
                                        ;       Parent Loop BB2_41 Depth=3
                                        ; =>      This Inner Loop Header: Depth=4
	s_sleep 1
	global_store_dwordx2 v[10:11], v[8:9], off
	v_mov_b32_e32 v6, s0
	v_mov_b32_e32 v7, s1
	buffer_wbl2 sc0 sc1
	s_waitcnt vmcnt(0)
	global_atomic_cmpswap_x2 v[6:7], v47, v[6:9], s[4:5] offset:24 sc0 sc1
	s_waitcnt vmcnt(0)
	v_cmp_eq_u64_e32 vcc, v[6:7], v[8:9]
	s_or_b64 s[6:7], vcc, s[6:7]
	v_mov_b64_e32 v[8:9], v[6:7]
	s_andn2_b64 exec, exec, s[6:7]
	s_cbranch_execnz .LBB2_180
.LBB2_181:                              ;   in Loop: Header=BB2_41 Depth=3
	s_or_b64 exec, exec, s[2:3]
	v_mov_b32_e32 v3, v47
	s_waitcnt vmcnt(0)
	v_lshl_add_u64 v[6:7], v[96:97], 0, v[2:3]
	global_load_ubyte v5, v[6:7], off
	s_waitcnt vmcnt(0)
	v_cmp_ne_u16_e32 vcc, s91, v5
	s_and_saveexec_b64 s[0:1], vcc
	s_cbranch_execz .LBB2_40
; %bb.182:                              ;   in Loop: Header=BB2_41 Depth=3
	v_lshl_add_u64 v[2:3], v[98:99], 0, v[2:3]
	global_load_sbyte v2, v[2:3], off
	s_waitcnt vmcnt(0)
	v_subrev_u32_e32 v6, s33, v2
	v_cmp_lt_i32_e32 vcc, 9, v6
	s_and_saveexec_b64 s[2:3], vcc
	s_cbranch_execz .LBB2_187
; %bb.183:                              ;   in Loop: Header=BB2_41 Depth=3
	v_cmp_lt_i16_e32 vcc, s92, v5
	s_mov_b64 s[4:5], 0
                                        ; implicit-def: $vgpr2_vgpr3
	s_and_saveexec_b64 s[6:7], vcc
	s_xor_b64 s[6:7], exec, s[6:7]
	s_cbranch_execnz .LBB2_191
; %bb.184:                              ;   in Loop: Header=BB2_41 Depth=3
	s_andn2_saveexec_b64 s[6:7], s[6:7]
	s_cbranch_execnz .LBB2_200
.LBB2_185:                              ;   in Loop: Header=BB2_41 Depth=3
	s_or_b64 exec, exec, s[6:7]
	s_and_b64 exec, exec, s[4:5]
	s_cbranch_execz .LBB2_187
.LBB2_186:                              ;   in Loop: Header=BB2_41 Depth=3
	flat_atomic_add v[2:3], v59
.LBB2_187:                              ;   in Loop: Header=BB2_41 Depth=3
	s_or_b64 exec, exec, s[2:3]
	v_cmp_lt_i32_e32 vcc, 19, v6
	s_and_b64 exec, exec, vcc
	s_cbranch_execz .LBB2_40
; %bb.188:                              ;   in Loop: Header=BB2_41 Depth=3
	v_cmp_lt_i16_e32 vcc, s92, v5
	s_mov_b64 s[2:3], 0
                                        ; implicit-def: $vgpr2_vgpr3
	s_and_saveexec_b64 s[4:5], vcc
	s_xor_b64 s[4:5], exec, s[4:5]
	s_cbranch_execnz .LBB2_207
; %bb.189:                              ;   in Loop: Header=BB2_41 Depth=3
	s_andn2_saveexec_b64 s[4:5], s[4:5]
	s_cbranch_execnz .LBB2_216
.LBB2_190:                              ;   in Loop: Header=BB2_41 Depth=3
	s_or_b64 exec, exec, s[4:5]
	s_and_b64 exec, exec, s[2:3]
	s_cbranch_execz .LBB2_40
	s_branch .LBB2_223
.LBB2_191:                              ;   in Loop: Header=BB2_41 Depth=3
	v_cmp_lt_i16_e32 vcc, s93, v5
                                        ; implicit-def: $vgpr2_vgpr3
	s_and_saveexec_b64 s[8:9], vcc
	s_xor_b64 s[8:9], exec, s[8:9]
	s_cbranch_execz .LBB2_195
; %bb.192:                              ;   in Loop: Header=BB2_41 Depth=3
	v_cmp_eq_u16_e32 vcc, s94, v5
                                        ; implicit-def: $vgpr2_vgpr3
	s_and_saveexec_b64 s[10:11], vcc
; %bb.193:                              ;   in Loop: Header=BB2_41 Depth=3
	s_mov_b64 s[4:5], exec
	v_lshl_add_u64 v[2:3], v[0:1], 0, 44
; %bb.194:                              ;   in Loop: Header=BB2_41 Depth=3
	s_or_b64 exec, exec, s[10:11]
	s_and_b64 s[4:5], s[4:5], exec
.LBB2_195:                              ;   in Loop: Header=BB2_41 Depth=3
	s_andn2_saveexec_b64 s[8:9], s[8:9]
	s_cbranch_execz .LBB2_199
; %bb.196:                              ;   in Loop: Header=BB2_41 Depth=3
	v_cmp_eq_u16_e32 vcc, s95, v5
	s_mov_b64 s[10:11], s[4:5]
                                        ; implicit-def: $vgpr2_vgpr3
	s_and_saveexec_b64 s[12:13], vcc
; %bb.197:                              ;   in Loop: Header=BB2_41 Depth=3
	v_lshl_add_u64 v[2:3], v[0:1], 0, 40
	s_or_b64 s[10:11], s[4:5], exec
; %bb.198:                              ;   in Loop: Header=BB2_41 Depth=3
	s_or_b64 exec, exec, s[12:13]
	s_andn2_b64 s[4:5], s[4:5], exec
	s_and_b64 s[10:11], s[10:11], exec
	s_or_b64 s[4:5], s[4:5], s[10:11]
.LBB2_199:                              ;   in Loop: Header=BB2_41 Depth=3
	s_or_b64 exec, exec, s[8:9]
	s_and_b64 s[4:5], s[4:5], exec
	s_andn2_saveexec_b64 s[6:7], s[6:7]
	s_cbranch_execz .LBB2_185
.LBB2_200:                              ;   in Loop: Header=BB2_41 Depth=3
	v_cmp_lt_i16_e32 vcc, s96, v5
	s_mov_b64 s[8:9], s[4:5]
                                        ; implicit-def: $vgpr2_vgpr3
	s_and_saveexec_b64 s[10:11], vcc
	s_xor_b64 s[10:11], exec, s[10:11]
	s_cbranch_execz .LBB2_204
; %bb.201:                              ;   in Loop: Header=BB2_41 Depth=3
	v_cmp_eq_u16_e32 vcc, s97, v5
	s_mov_b64 s[8:9], s[4:5]
                                        ; implicit-def: $vgpr2_vgpr3
	s_and_saveexec_b64 s[12:13], vcc
; %bb.202:                              ;   in Loop: Header=BB2_41 Depth=3
	v_lshl_add_u64 v[2:3], v[0:1], 0, 36
	s_or_b64 s[8:9], s[4:5], exec
; %bb.203:                              ;   in Loop: Header=BB2_41 Depth=3
	s_or_b64 exec, exec, s[12:13]
	s_andn2_b64 s[12:13], s[4:5], exec
	s_and_b64 s[8:9], s[8:9], exec
	s_or_b64 s[8:9], s[12:13], s[8:9]
.LBB2_204:                              ;   in Loop: Header=BB2_41 Depth=3
	s_andn2_saveexec_b64 s[10:11], s[10:11]
; %bb.205:                              ;   in Loop: Header=BB2_41 Depth=3
	v_cmp_eq_u16_e32 vcc, s98, v5
	s_andn2_b64 s[8:9], s[8:9], exec
	s_and_b64 s[12:13], vcc, exec
	v_lshl_add_u64 v[2:3], v[0:1], 0, 32
	s_or_b64 s[8:9], s[8:9], s[12:13]
; %bb.206:                              ;   in Loop: Header=BB2_41 Depth=3
	s_or_b64 exec, exec, s[10:11]
	s_andn2_b64 s[4:5], s[4:5], exec
	s_and_b64 s[8:9], s[8:9], exec
	s_or_b64 s[4:5], s[4:5], s[8:9]
	s_or_b64 exec, exec, s[6:7]
	s_and_b64 exec, exec, s[4:5]
	s_cbranch_execnz .LBB2_186
	s_branch .LBB2_187
.LBB2_207:                              ;   in Loop: Header=BB2_41 Depth=3
	v_cmp_lt_i16_e32 vcc, s93, v5
                                        ; implicit-def: $vgpr2_vgpr3
	s_and_saveexec_b64 s[6:7], vcc
	s_xor_b64 s[6:7], exec, s[6:7]
	s_cbranch_execz .LBB2_211
; %bb.208:                              ;   in Loop: Header=BB2_41 Depth=3
	v_cmp_eq_u16_e32 vcc, s94, v5
                                        ; implicit-def: $vgpr2_vgpr3
	s_and_saveexec_b64 s[8:9], vcc
; %bb.209:                              ;   in Loop: Header=BB2_41 Depth=3
	s_mov_b64 s[2:3], exec
	v_lshl_add_u64 v[2:3], v[0:1], 0, 28
; %bb.210:                              ;   in Loop: Header=BB2_41 Depth=3
	s_or_b64 exec, exec, s[8:9]
	s_and_b64 s[2:3], s[2:3], exec
                                        ; implicit-def: $vgpr5
                                        ; implicit-def: $vgpr0_vgpr1
.LBB2_211:                              ;   in Loop: Header=BB2_41 Depth=3
	s_andn2_saveexec_b64 s[6:7], s[6:7]
	s_cbranch_execz .LBB2_215
; %bb.212:                              ;   in Loop: Header=BB2_41 Depth=3
	v_cmp_eq_u16_e32 vcc, s95, v5
	s_mov_b64 s[8:9], s[2:3]
                                        ; implicit-def: $vgpr2_vgpr3
	s_and_saveexec_b64 s[10:11], vcc
; %bb.213:                              ;   in Loop: Header=BB2_41 Depth=3
	v_lshl_add_u64 v[2:3], v[0:1], 0, 24
	s_or_b64 s[8:9], s[2:3], exec
; %bb.214:                              ;   in Loop: Header=BB2_41 Depth=3
	s_or_b64 exec, exec, s[10:11]
	s_andn2_b64 s[2:3], s[2:3], exec
	s_and_b64 s[8:9], s[8:9], exec
	s_or_b64 s[2:3], s[2:3], s[8:9]
.LBB2_215:                              ;   in Loop: Header=BB2_41 Depth=3
	s_or_b64 exec, exec, s[6:7]
	s_and_b64 s[2:3], s[2:3], exec
                                        ; implicit-def: $vgpr0_vgpr1
                                        ; implicit-def: $vgpr5
	s_andn2_saveexec_b64 s[4:5], s[4:5]
	s_cbranch_execz .LBB2_190
.LBB2_216:                              ;   in Loop: Header=BB2_41 Depth=3
	v_cmp_lt_i16_e32 vcc, s96, v5
	s_mov_b64 s[6:7], s[2:3]
                                        ; implicit-def: $vgpr2_vgpr3
	s_and_saveexec_b64 s[8:9], vcc
	s_xor_b64 s[8:9], exec, s[8:9]
	s_cbranch_execz .LBB2_220
; %bb.217:                              ;   in Loop: Header=BB2_41 Depth=3
	v_cmp_eq_u16_e32 vcc, s97, v5
	s_mov_b64 s[6:7], s[2:3]
                                        ; implicit-def: $vgpr2_vgpr3
	s_and_saveexec_b64 s[10:11], vcc
; %bb.218:                              ;   in Loop: Header=BB2_41 Depth=3
	v_lshl_add_u64 v[2:3], v[0:1], 0, 20
	s_or_b64 s[6:7], s[2:3], exec
; %bb.219:                              ;   in Loop: Header=BB2_41 Depth=3
	s_or_b64 exec, exec, s[10:11]
	s_andn2_b64 s[10:11], s[2:3], exec
	s_and_b64 s[6:7], s[6:7], exec
	s_or_b64 s[6:7], s[10:11], s[6:7]
                                        ; implicit-def: $vgpr0_vgpr1
                                        ; implicit-def: $vgpr5
.LBB2_220:                              ;   in Loop: Header=BB2_41 Depth=3
	s_andn2_saveexec_b64 s[8:9], s[8:9]
; %bb.221:                              ;   in Loop: Header=BB2_41 Depth=3
	v_cmp_eq_u16_e32 vcc, s98, v5
	s_andn2_b64 s[6:7], s[6:7], exec
	s_and_b64 s[10:11], vcc, exec
	v_lshl_add_u64 v[2:3], v[0:1], 0, 16
	s_or_b64 s[6:7], s[6:7], s[10:11]
; %bb.222:                              ;   in Loop: Header=BB2_41 Depth=3
	s_or_b64 exec, exec, s[8:9]
	s_andn2_b64 s[2:3], s[2:3], exec
	s_and_b64 s[6:7], s[6:7], exec
	s_or_b64 s[2:3], s[2:3], s[6:7]
	s_or_b64 exec, exec, s[4:5]
	s_and_b64 exec, exec, s[2:3]
	s_cbranch_execz .LBB2_40
.LBB2_223:                              ;   in Loop: Header=BB2_41 Depth=3
	flat_atomic_add v[2:3], v59
	s_branch .LBB2_40
.LBB2_224:                              ;   in Loop: Header=BB2_13 Depth=1
	s_or_b64 exec, exec, s[78:79]
; %bb.225:                              ;   in Loop: Header=BB2_13 Depth=1
	s_and_saveexec_b64 s[6:7], s[38:39]
	s_cbranch_execz .LBB2_579
; %bb.226:                              ;   in Loop: Header=BB2_13 Depth=1
	s_mov_b64 s[8:9], 0
	v_mov_b32_e32 v5, v78
	s_branch .LBB2_228
.LBB2_227:                              ;   in Loop: Header=BB2_228 Depth=2
	s_or_b64 exec, exec, s[10:11]
	v_add_u32_e32 v5, 64, v5
	v_cmp_ge_u32_e32 vcc, v5, v42
	s_or_b64 s[8:9], vcc, s[8:9]
	s_andn2_b64 exec, exec, s[8:9]
	s_cbranch_execz .LBB2_579
.LBB2_228:                              ;   Parent Loop BB2_13 Depth=1
                                        ; =>  This Loop Header: Depth=2
                                        ;       Child Loop BB2_337 Depth 3
                                        ;       Child Loop BB2_345 Depth 3
	;; [unrolled: 1-line block ×9, first 2 shown]
                                        ;         Child Loop BB2_438 Depth 4
                                        ;         Child Loop BB2_446 Depth 4
	;; [unrolled: 1-line block ×11, first 2 shown]
	v_mad_u64_u32 v[22:23], s[0:1], v5, 56, v[40:41]
	global_load_dword v0, v[22:23], off offset:8
	s_waitcnt vmcnt(0)
	v_cmp_ne_u32_e32 vcc, -1, v0
	s_and_saveexec_b64 s[10:11], vcc
	s_cbranch_execz .LBB2_227
; %bb.229:                              ;   in Loop: Header=BB2_228 Depth=2
	global_load_dwordx4 v[0:3], v[22:23], off offset:32
	global_load_dwordx4 v[6:9], v[22:23], off offset:16
	s_nop 0
	scratch_store_byte off, v106, off
	scratch_store_byte off, v107, off offset:16
	scratch_store_byte off, v108, off offset:32
	;; [unrolled: 1-line block ×3, first 2 shown]
	s_waitcnt vmcnt(0)
	v_mov_b32_e32 v13, v0
	v_mov_b32_e32 v12, v6
	;; [unrolled: 1-line block ×10, first 2 shown]
	v_cmp_lt_u32_e32 vcc, 1, v0
	scratch_store_dwordx2 off, v[12:13], off offset:4
	scratch_store_dwordx2 off, v[14:15], off offset:20
	;; [unrolled: 1-line block ×4, first 2 shown]
	v_mov_b32_e32 v10, v0
	s_and_saveexec_b64 s[2:3], vcc
	s_cbranch_execz .LBB2_243
; %bb.230:                              ;   in Loop: Header=BB2_228 Depth=2
	v_cvt_f64_u32_e32 v[14:15], v0
	v_cmp_ngt_f64_e32 vcc, v[82:83], v[14:15]
	v_mov_b32_e32 v10, 2
	s_and_saveexec_b64 s[4:5], vcc
	s_cbranch_execz .LBB2_242
; %bb.231:                              ;   in Loop: Header=BB2_228 Depth=2
	v_cmp_ngt_f64_e32 vcc, v[84:85], v[14:15]
	v_cmp_nle_f64_e64 s[0:1], v[82:83], v[14:15]
	v_cvt_f64_u32_e32 v[12:13], v6
	s_or_b64 s[0:1], vcc, s[0:1]
	v_cmp_ngt_f64_e32 vcc, v[82:83], v[12:13]
	s_or_b64 s[14:15], s[0:1], vcc
	v_mov_b32_e32 v10, 3
	s_and_saveexec_b64 s[12:13], s[14:15]
	s_cbranch_execz .LBB2_241
; %bb.232:                              ;   in Loop: Header=BB2_228 Depth=2
	v_cmp_nle_f64_e32 vcc, v[82:83], v[12:13]
	s_or_b64 s[0:1], s[0:1], vcc
	v_mov_b32_e32 v10, 4
	s_and_saveexec_b64 s[14:15], s[0:1]
	s_cbranch_execz .LBB2_240
; %bb.233:                              ;   in Loop: Header=BB2_228 Depth=2
	v_cmp_nle_f64_e64 s[18:19], v[84:85], v[14:15]
	v_cmp_ngt_f64_e64 s[0:1], v[82:83], v[12:13]
	v_cmp_le_f64_e32 vcc, v[84:85], v[14:15]
	s_or_b64 s[0:1], s[18:19], s[0:1]
	v_mov_b32_e32 v10, 5
	s_and_saveexec_b64 s[16:17], s[0:1]
	s_cbranch_execz .LBB2_239
; %bb.234:                              ;   in Loop: Header=BB2_228 Depth=2
	s_and_saveexec_b64 s[20:21], vcc
; %bb.235:                              ;   in Loop: Header=BB2_228 Depth=2
	v_cmp_nlt_f64_e32 vcc, v[82:83], v[12:13]
	v_cmp_ngt_f64_e64 s[0:1], v[84:85], v[12:13]
	s_or_b64 s[0:1], vcc, s[0:1]
	s_andn2_b64 s[18:19], s[18:19], exec
	s_and_b64 s[0:1], s[0:1], exec
	s_or_b64 s[18:19], s[18:19], s[0:1]
; %bb.236:                              ;   in Loop: Header=BB2_228 Depth=2
	s_or_b64 exec, exec, s[20:21]
	v_mov_b32_e32 v10, 6
	s_and_saveexec_b64 s[0:1], s[18:19]
; %bb.237:                              ;   in Loop: Header=BB2_228 Depth=2
	v_mov_b32_e32 v10, 7
; %bb.238:                              ;   in Loop: Header=BB2_228 Depth=2
	s_or_b64 exec, exec, s[0:1]
.LBB2_239:                              ;   in Loop: Header=BB2_228 Depth=2
	s_or_b64 exec, exec, s[16:17]
.LBB2_240:                              ;   in Loop: Header=BB2_228 Depth=2
	s_or_b64 exec, exec, s[14:15]
.LBB2_241:                              ;   in Loop: Header=BB2_228 Depth=2
	s_or_b64 exec, exec, s[12:13]
.LBB2_242:                              ;   in Loop: Header=BB2_228 Depth=2
	s_or_b64 exec, exec, s[4:5]
.LBB2_243:                              ;   in Loop: Header=BB2_228 Depth=2
	s_or_b64 exec, exec, s[2:3]
	v_cmp_lt_u32_e32 vcc, 1, v1
	scratch_store_dword off, v10, off offset:12
	s_and_saveexec_b64 s[2:3], vcc
	s_cbranch_execz .LBB2_257
; %bb.244:                              ;   in Loop: Header=BB2_228 Depth=2
	v_cvt_f64_u32_e32 v[14:15], v1
	v_cmp_ngt_f64_e32 vcc, v[82:83], v[14:15]
	v_mov_b32_e32 v17, 2
	s_and_saveexec_b64 s[4:5], vcc
	s_cbranch_execz .LBB2_256
; %bb.245:                              ;   in Loop: Header=BB2_228 Depth=2
	v_cmp_ngt_f64_e32 vcc, v[84:85], v[14:15]
	v_cmp_nle_f64_e64 s[0:1], v[82:83], v[14:15]
	v_cvt_f64_u32_e32 v[12:13], v7
	s_or_b64 s[0:1], vcc, s[0:1]
	v_cmp_ngt_f64_e32 vcc, v[82:83], v[12:13]
	s_or_b64 s[14:15], s[0:1], vcc
	v_mov_b32_e32 v17, 3
	s_and_saveexec_b64 s[12:13], s[14:15]
	s_cbranch_execz .LBB2_255
; %bb.246:                              ;   in Loop: Header=BB2_228 Depth=2
	v_cmp_nle_f64_e32 vcc, v[82:83], v[12:13]
	s_or_b64 s[0:1], s[0:1], vcc
	v_mov_b32_e32 v17, 4
	s_and_saveexec_b64 s[14:15], s[0:1]
	s_cbranch_execz .LBB2_254
; %bb.247:                              ;   in Loop: Header=BB2_228 Depth=2
	v_cmp_nle_f64_e64 s[18:19], v[84:85], v[14:15]
	v_cmp_ngt_f64_e64 s[0:1], v[82:83], v[12:13]
	v_cmp_le_f64_e32 vcc, v[84:85], v[14:15]
	s_or_b64 s[0:1], s[18:19], s[0:1]
	v_mov_b32_e32 v17, 5
	s_and_saveexec_b64 s[16:17], s[0:1]
	s_cbranch_execz .LBB2_253
; %bb.248:                              ;   in Loop: Header=BB2_228 Depth=2
	s_and_saveexec_b64 s[20:21], vcc
; %bb.249:                              ;   in Loop: Header=BB2_228 Depth=2
	v_cmp_nlt_f64_e32 vcc, v[82:83], v[12:13]
	v_cmp_ngt_f64_e64 s[0:1], v[84:85], v[12:13]
	s_or_b64 s[0:1], vcc, s[0:1]
	s_andn2_b64 s[18:19], s[18:19], exec
	s_and_b64 s[0:1], s[0:1], exec
	s_or_b64 s[18:19], s[18:19], s[0:1]
; %bb.250:                              ;   in Loop: Header=BB2_228 Depth=2
	s_or_b64 exec, exec, s[20:21]
	v_mov_b32_e32 v17, 6
	s_and_saveexec_b64 s[0:1], s[18:19]
; %bb.251:                              ;   in Loop: Header=BB2_228 Depth=2
	v_mov_b32_e32 v17, 7
; %bb.252:                              ;   in Loop: Header=BB2_228 Depth=2
	s_or_b64 exec, exec, s[0:1]
.LBB2_253:                              ;   in Loop: Header=BB2_228 Depth=2
	s_or_b64 exec, exec, s[16:17]
.LBB2_254:                              ;   in Loop: Header=BB2_228 Depth=2
	s_or_b64 exec, exec, s[14:15]
.LBB2_255:                              ;   in Loop: Header=BB2_228 Depth=2
	s_or_b64 exec, exec, s[12:13]
.LBB2_256:                              ;   in Loop: Header=BB2_228 Depth=2
	s_or_b64 exec, exec, s[4:5]
.LBB2_257:                              ;   in Loop: Header=BB2_228 Depth=2
	s_or_b64 exec, exec, s[2:3]
	v_cmp_lt_u32_e32 vcc, 1, v2
	scratch_store_dword off, v17, off offset:28
	s_and_saveexec_b64 s[2:3], vcc
	s_cbranch_execz .LBB2_271
; %bb.258:                              ;   in Loop: Header=BB2_228 Depth=2
	v_cvt_f64_u32_e32 v[14:15], v2
	v_cmp_ngt_f64_e32 vcc, v[82:83], v[14:15]
	v_mov_b32_e32 v11, 2
	s_and_saveexec_b64 s[4:5], vcc
	s_cbranch_execz .LBB2_270
; %bb.259:                              ;   in Loop: Header=BB2_228 Depth=2
	v_cmp_ngt_f64_e32 vcc, v[84:85], v[14:15]
	v_cmp_nle_f64_e64 s[0:1], v[82:83], v[14:15]
	v_cvt_f64_u32_e32 v[12:13], v8
	s_or_b64 s[0:1], vcc, s[0:1]
	v_cmp_ngt_f64_e32 vcc, v[82:83], v[12:13]
	s_or_b64 s[14:15], s[0:1], vcc
	v_mov_b32_e32 v11, 3
	s_and_saveexec_b64 s[12:13], s[14:15]
	s_cbranch_execz .LBB2_269
; %bb.260:                              ;   in Loop: Header=BB2_228 Depth=2
	v_cmp_nle_f64_e32 vcc, v[82:83], v[12:13]
	s_or_b64 s[0:1], s[0:1], vcc
	v_mov_b32_e32 v11, 4
	s_and_saveexec_b64 s[14:15], s[0:1]
	s_cbranch_execz .LBB2_268
; %bb.261:                              ;   in Loop: Header=BB2_228 Depth=2
	v_cmp_nle_f64_e64 s[18:19], v[84:85], v[14:15]
	v_cmp_ngt_f64_e64 s[0:1], v[82:83], v[12:13]
	v_cmp_le_f64_e32 vcc, v[84:85], v[14:15]
	s_or_b64 s[0:1], s[18:19], s[0:1]
	v_mov_b32_e32 v11, 5
	s_and_saveexec_b64 s[16:17], s[0:1]
	s_cbranch_execz .LBB2_267
; %bb.262:                              ;   in Loop: Header=BB2_228 Depth=2
	s_and_saveexec_b64 s[20:21], vcc
; %bb.263:                              ;   in Loop: Header=BB2_228 Depth=2
	v_cmp_nlt_f64_e32 vcc, v[82:83], v[12:13]
	v_cmp_ngt_f64_e64 s[0:1], v[84:85], v[12:13]
	s_or_b64 s[0:1], vcc, s[0:1]
	s_andn2_b64 s[18:19], s[18:19], exec
	s_and_b64 s[0:1], s[0:1], exec
	s_or_b64 s[18:19], s[18:19], s[0:1]
; %bb.264:                              ;   in Loop: Header=BB2_228 Depth=2
	s_or_b64 exec, exec, s[20:21]
	v_mov_b32_e32 v11, 6
	s_and_saveexec_b64 s[0:1], s[18:19]
; %bb.265:                              ;   in Loop: Header=BB2_228 Depth=2
	v_mov_b32_e32 v11, 7
; %bb.266:                              ;   in Loop: Header=BB2_228 Depth=2
	s_or_b64 exec, exec, s[0:1]
.LBB2_267:                              ;   in Loop: Header=BB2_228 Depth=2
	s_or_b64 exec, exec, s[16:17]
.LBB2_268:                              ;   in Loop: Header=BB2_228 Depth=2
	s_or_b64 exec, exec, s[14:15]
.LBB2_269:                              ;   in Loop: Header=BB2_228 Depth=2
	s_or_b64 exec, exec, s[12:13]
.LBB2_270:                              ;   in Loop: Header=BB2_228 Depth=2
	s_or_b64 exec, exec, s[4:5]
.LBB2_271:                              ;   in Loop: Header=BB2_228 Depth=2
	s_or_b64 exec, exec, s[2:3]
	v_cmp_lt_u32_e32 vcc, 1, v3
	scratch_store_dword off, v11, off offset:44
	s_and_saveexec_b64 s[2:3], vcc
	s_cbranch_execz .LBB2_285
; %bb.272:                              ;   in Loop: Header=BB2_228 Depth=2
	v_cvt_f64_u32_e32 v[14:15], v3
	v_cmp_ngt_f64_e32 vcc, v[82:83], v[14:15]
	v_mov_b32_e32 v16, 2
	s_and_saveexec_b64 s[4:5], vcc
	s_cbranch_execz .LBB2_284
; %bb.273:                              ;   in Loop: Header=BB2_228 Depth=2
	v_cmp_ngt_f64_e32 vcc, v[84:85], v[14:15]
	v_cmp_nle_f64_e64 s[0:1], v[82:83], v[14:15]
	v_cvt_f64_u32_e32 v[12:13], v9
	s_or_b64 s[0:1], vcc, s[0:1]
	v_cmp_ngt_f64_e32 vcc, v[82:83], v[12:13]
	s_or_b64 s[14:15], s[0:1], vcc
	v_mov_b32_e32 v16, 3
	s_and_saveexec_b64 s[12:13], s[14:15]
	s_cbranch_execz .LBB2_283
; %bb.274:                              ;   in Loop: Header=BB2_228 Depth=2
	v_cmp_nle_f64_e32 vcc, v[82:83], v[12:13]
	s_or_b64 s[0:1], s[0:1], vcc
	v_mov_b32_e32 v16, 4
	s_and_saveexec_b64 s[14:15], s[0:1]
	s_cbranch_execz .LBB2_282
; %bb.275:                              ;   in Loop: Header=BB2_228 Depth=2
	v_cmp_nle_f64_e64 s[18:19], v[84:85], v[14:15]
	v_cmp_ngt_f64_e64 s[0:1], v[82:83], v[12:13]
	v_cmp_le_f64_e32 vcc, v[84:85], v[14:15]
	s_or_b64 s[0:1], s[18:19], s[0:1]
	v_mov_b32_e32 v16, 5
	s_and_saveexec_b64 s[16:17], s[0:1]
	s_cbranch_execz .LBB2_281
; %bb.276:                              ;   in Loop: Header=BB2_228 Depth=2
	s_and_saveexec_b64 s[20:21], vcc
; %bb.277:                              ;   in Loop: Header=BB2_228 Depth=2
	v_cmp_nlt_f64_e32 vcc, v[82:83], v[12:13]
	v_cmp_ngt_f64_e64 s[0:1], v[84:85], v[12:13]
	s_or_b64 s[0:1], vcc, s[0:1]
	s_andn2_b64 s[18:19], s[18:19], exec
	s_and_b64 s[0:1], s[0:1], exec
	s_or_b64 s[18:19], s[18:19], s[0:1]
; %bb.278:                              ;   in Loop: Header=BB2_228 Depth=2
	s_or_b64 exec, exec, s[20:21]
	v_mov_b32_e32 v16, 6
	s_and_saveexec_b64 s[0:1], s[18:19]
; %bb.279:                              ;   in Loop: Header=BB2_228 Depth=2
	v_mov_b32_e32 v16, 7
; %bb.280:                              ;   in Loop: Header=BB2_228 Depth=2
	s_or_b64 exec, exec, s[0:1]
.LBB2_281:                              ;   in Loop: Header=BB2_228 Depth=2
	s_or_b64 exec, exec, s[16:17]
.LBB2_282:                              ;   in Loop: Header=BB2_228 Depth=2
	s_or_b64 exec, exec, s[14:15]
.LBB2_283:                              ;   in Loop: Header=BB2_228 Depth=2
	s_or_b64 exec, exec, s[12:13]
.LBB2_284:                              ;   in Loop: Header=BB2_228 Depth=2
	s_or_b64 exec, exec, s[4:5]
.LBB2_285:                              ;   in Loop: Header=BB2_228 Depth=2
	s_or_b64 exec, exec, s[2:3]
	v_cmp_ne_u32_e32 vcc, v10, v17
	scratch_store_dword off, v16, off offset:60
                                        ; implicit-def: $sgpr0_sgpr1
	s_and_saveexec_b64 s[2:3], vcc
	s_xor_b64 s[2:3], exec, s[2:3]
	s_cbranch_execnz .LBB2_356
; %bb.286:                              ;   in Loop: Header=BB2_228 Depth=2
	s_andn2_saveexec_b64 s[2:3], s[2:3]
	s_cbranch_execnz .LBB2_357
.LBB2_287:                              ;   in Loop: Header=BB2_228 Depth=2
	s_or_b64 exec, exec, s[2:3]
	s_and_saveexec_b64 s[2:3], s[0:1]
	s_cbranch_execz .LBB2_289
.LBB2_288:                              ;   in Loop: Header=BB2_228 Depth=2
	scratch_load_dwordx4 v[12:15], off, s41
	scratch_load_dwordx4 v[18:21], off, off
	s_waitcnt vmcnt(0)
	scratch_store_dwordx4 off, v[12:15], off
	scratch_load_dword v10, off, off offset:12
	ds_write2_b32 v102, v20, v21 offset0:2 offset1:3
	ds_write2_b32 v102, v18, v19 offset1:1
	scratch_store_dwordx4 off, v[18:21], s41
.LBB2_289:                              ;   in Loop: Header=BB2_228 Depth=2
	s_or_b64 exec, exec, s[2:3]
	s_waitcnt vmcnt(0)
	v_cmp_ne_u32_e32 vcc, v10, v11
                                        ; implicit-def: $sgpr0_sgpr1
	s_and_saveexec_b64 s[2:3], vcc
	s_xor_b64 s[2:3], exec, s[2:3]
	s_cbranch_execnz .LBB2_362
; %bb.290:                              ;   in Loop: Header=BB2_228 Depth=2
	s_andn2_saveexec_b64 s[2:3], s[2:3]
	s_cbranch_execnz .LBB2_363
.LBB2_291:                              ;   in Loop: Header=BB2_228 Depth=2
	s_or_b64 exec, exec, s[2:3]
	s_and_saveexec_b64 s[2:3], s[0:1]
	s_cbranch_execz .LBB2_293
.LBB2_292:                              ;   in Loop: Header=BB2_228 Depth=2
	scratch_load_dwordx4 v[10:13], off, s88
	scratch_load_dwordx4 v[18:21], off, off
	s_waitcnt vmcnt(0)
	scratch_store_dwordx4 off, v[10:13], off
	scratch_load_dword v10, off, off offset:12
	ds_write2_b32 v102, v20, v21 offset0:2 offset1:3
	ds_write2_b32 v102, v18, v19 offset1:1
	scratch_store_dwordx4 off, v[18:21], s88
.LBB2_293:                              ;   in Loop: Header=BB2_228 Depth=2
	s_or_b64 exec, exec, s[2:3]
	s_waitcnt vmcnt(0)
	v_cmp_ne_u32_e32 vcc, v10, v16
                                        ; implicit-def: $sgpr0_sgpr1
	s_and_saveexec_b64 s[2:3], vcc
	s_xor_b64 s[2:3], exec, s[2:3]
	s_cbranch_execnz .LBB2_368
; %bb.294:                              ;   in Loop: Header=BB2_228 Depth=2
	s_andn2_saveexec_b64 s[2:3], s[2:3]
	s_cbranch_execnz .LBB2_369
.LBB2_295:                              ;   in Loop: Header=BB2_228 Depth=2
	s_or_b64 exec, exec, s[2:3]
	s_and_saveexec_b64 s[2:3], s[0:1]
	s_cbranch_execz .LBB2_297
.LBB2_296:                              ;   in Loop: Header=BB2_228 Depth=2
	scratch_load_dwordx4 v[0:3], off, s89
	scratch_load_dwordx4 v[6:9], off, off
	s_waitcnt vmcnt(0)
	scratch_store_dwordx4 off, v[0:3], off
	scratch_load_dword v10, off, off offset:12
	ds_write2_b32 v102, v8, v9 offset0:2 offset1:3
	ds_write2_b32 v102, v6, v7 offset1:1
	scratch_store_dwordx4 off, v[6:9], s89
.LBB2_297:                              ;   in Loop: Header=BB2_228 Depth=2
	s_or_b64 exec, exec, s[2:3]
	scratch_load_dword v0, off, off offset:28
                                        ; implicit-def: $sgpr0_sgpr1
	s_waitcnt vmcnt(0)
	v_cmp_ne_u32_e32 vcc, v0, v10
	s_and_saveexec_b64 s[2:3], vcc
	s_xor_b64 s[2:3], exec, s[2:3]
	s_cbranch_execnz .LBB2_374
; %bb.298:                              ;   in Loop: Header=BB2_228 Depth=2
	s_andn2_saveexec_b64 s[2:3], s[2:3]
	s_cbranch_execnz .LBB2_375
.LBB2_299:                              ;   in Loop: Header=BB2_228 Depth=2
	s_or_b64 exec, exec, s[2:3]
	s_and_saveexec_b64 s[2:3], s[0:1]
	s_cbranch_execz .LBB2_301
.LBB2_300:                              ;   in Loop: Header=BB2_228 Depth=2
	scratch_load_dwordx4 v[0:3], off, off
	scratch_load_dwordx4 v[6:9], off, s41
	s_waitcnt vmcnt(0)
	scratch_store_dwordx4 off, v[0:3], s41
	scratch_load_dword v0, off, off offset:28
	ds_write2_b32 v102, v8, v9 offset0:2 offset1:3
	ds_write2_b32 v102, v6, v7 offset1:1
	scratch_store_dwordx4 off, v[6:9], off
.LBB2_301:                              ;   in Loop: Header=BB2_228 Depth=2
	s_or_b64 exec, exec, s[2:3]
	scratch_load_dword v1, off, off offset:44
                                        ; implicit-def: $sgpr0_sgpr1
	s_waitcnt vmcnt(0)
	v_cmp_ne_u32_e32 vcc, v0, v1
	s_and_saveexec_b64 s[2:3], vcc
	s_xor_b64 s[2:3], exec, s[2:3]
	s_cbranch_execnz .LBB2_380
; %bb.302:                              ;   in Loop: Header=BB2_228 Depth=2
	s_andn2_saveexec_b64 s[2:3], s[2:3]
	s_cbranch_execnz .LBB2_381
.LBB2_303:                              ;   in Loop: Header=BB2_228 Depth=2
	s_or_b64 exec, exec, s[2:3]
	s_and_saveexec_b64 s[2:3], s[0:1]
	s_cbranch_execz .LBB2_305
.LBB2_304:                              ;   in Loop: Header=BB2_228 Depth=2
	scratch_load_dwordx4 v[0:3], off, s88
	scratch_load_dwordx4 v[6:9], off, s41
	s_waitcnt vmcnt(0)
	scratch_store_dwordx4 off, v[0:3], s41
	scratch_load_dword v0, off, off offset:28
	ds_write2_b32 v102, v8, v9 offset0:2 offset1:3
	ds_write2_b32 v102, v6, v7 offset1:1
	scratch_store_dwordx4 off, v[6:9], s88
.LBB2_305:                              ;   in Loop: Header=BB2_228 Depth=2
	s_or_b64 exec, exec, s[2:3]
	scratch_load_dword v1, off, off offset:60
                                        ; implicit-def: $sgpr0_sgpr1
	s_waitcnt vmcnt(0)
	v_cmp_ne_u32_e32 vcc, v0, v1
	s_and_saveexec_b64 s[2:3], vcc
	s_xor_b64 s[2:3], exec, s[2:3]
	s_cbranch_execnz .LBB2_386
; %bb.306:                              ;   in Loop: Header=BB2_228 Depth=2
	s_andn2_saveexec_b64 s[2:3], s[2:3]
	s_cbranch_execnz .LBB2_387
.LBB2_307:                              ;   in Loop: Header=BB2_228 Depth=2
	s_or_b64 exec, exec, s[2:3]
	s_and_saveexec_b64 s[2:3], s[0:1]
	s_cbranch_execz .LBB2_309
.LBB2_308:                              ;   in Loop: Header=BB2_228 Depth=2
	scratch_load_dwordx4 v[0:3], off, s41
	scratch_load_dwordx4 v[6:9], off, s89
	s_waitcnt vmcnt(0)
	ds_write2_b32 v102, v2, v3 offset0:2 offset1:3
	ds_write2_b32 v102, v0, v1 offset1:1
	scratch_store_dwordx4 off, v[6:9], s41
	scratch_store_dwordx4 off, v[0:3], s89
.LBB2_309:                              ;   in Loop: Header=BB2_228 Depth=2
	s_or_b64 exec, exec, s[2:3]
	scratch_load_dword v1, off, off offset:44
	scratch_load_dword v0, off, off offset:12
                                        ; implicit-def: $sgpr0_sgpr1
	s_waitcnt vmcnt(0)
	v_cmp_ne_u32_e32 vcc, v1, v0
	s_and_saveexec_b64 s[2:3], vcc
	s_xor_b64 s[2:3], exec, s[2:3]
	s_cbranch_execnz .LBB2_392
; %bb.310:                              ;   in Loop: Header=BB2_228 Depth=2
	s_andn2_saveexec_b64 s[2:3], s[2:3]
	s_cbranch_execnz .LBB2_393
.LBB2_311:                              ;   in Loop: Header=BB2_228 Depth=2
	s_or_b64 exec, exec, s[2:3]
	s_and_saveexec_b64 s[2:3], s[0:1]
	s_cbranch_execz .LBB2_313
.LBB2_312:                              ;   in Loop: Header=BB2_228 Depth=2
	scratch_load_dwordx4 v[0:3], off, off
	scratch_load_dwordx4 v[6:9], off, s88
	s_waitcnt vmcnt(0)
	scratch_store_dwordx4 off, v[0:3], s88
	scratch_load_dword v1, off, off offset:44
	ds_write2_b32 v102, v8, v9 offset0:2 offset1:3
	ds_write2_b32 v102, v6, v7 offset1:1
	scratch_store_dwordx4 off, v[6:9], off
.LBB2_313:                              ;   in Loop: Header=BB2_228 Depth=2
	s_or_b64 exec, exec, s[2:3]
	scratch_load_dword v0, off, off offset:28
                                        ; implicit-def: $sgpr0_sgpr1
	s_waitcnt vmcnt(0)
	v_cmp_ne_u32_e32 vcc, v1, v0
	s_and_saveexec_b64 s[2:3], vcc
	s_xor_b64 s[2:3], exec, s[2:3]
	s_cbranch_execnz .LBB2_398
; %bb.314:                              ;   in Loop: Header=BB2_228 Depth=2
	s_andn2_saveexec_b64 s[2:3], s[2:3]
	s_cbranch_execnz .LBB2_399
.LBB2_315:                              ;   in Loop: Header=BB2_228 Depth=2
	s_or_b64 exec, exec, s[2:3]
	s_and_saveexec_b64 s[2:3], s[0:1]
	s_cbranch_execz .LBB2_317
.LBB2_316:                              ;   in Loop: Header=BB2_228 Depth=2
	scratch_load_dwordx4 v[0:3], off, s41
	scratch_load_dwordx4 v[6:9], off, s88
	s_waitcnt vmcnt(0)
	scratch_store_dwordx4 off, v[0:3], s88
	scratch_load_dword v1, off, off offset:44
	ds_write2_b32 v102, v8, v9 offset0:2 offset1:3
	ds_write2_b32 v102, v6, v7 offset1:1
	scratch_store_dwordx4 off, v[6:9], s41
.LBB2_317:                              ;   in Loop: Header=BB2_228 Depth=2
	s_or_b64 exec, exec, s[2:3]
	scratch_load_dword v0, off, off offset:60
                                        ; implicit-def: $sgpr0_sgpr1
	s_waitcnt vmcnt(0)
	v_cmp_ne_u32_e32 vcc, v1, v0
	s_and_saveexec_b64 s[2:3], vcc
	s_xor_b64 s[2:3], exec, s[2:3]
	s_cbranch_execnz .LBB2_404
; %bb.318:                              ;   in Loop: Header=BB2_228 Depth=2
	s_andn2_saveexec_b64 s[2:3], s[2:3]
	s_cbranch_execnz .LBB2_405
.LBB2_319:                              ;   in Loop: Header=BB2_228 Depth=2
	s_or_b64 exec, exec, s[2:3]
	s_and_saveexec_b64 s[2:3], s[0:1]
	s_cbranch_execz .LBB2_321
.LBB2_320:                              ;   in Loop: Header=BB2_228 Depth=2
	scratch_load_dwordx4 v[6:9], off, s88
	scratch_load_dwordx4 v[10:13], off, s89
	s_waitcnt vmcnt(0)
	scratch_store_dwordx4 off, v[6:9], s89
	scratch_load_dword v0, off, off offset:60
	ds_write2_b32 v102, v8, v9 offset0:2 offset1:3
	ds_write2_b32 v102, v6, v7 offset1:1
	scratch_store_dwordx4 off, v[10:13], s88
.LBB2_321:                              ;   in Loop: Header=BB2_228 Depth=2
	s_or_b64 exec, exec, s[2:3]
	scratch_load_dword v1, off, off offset:12
                                        ; implicit-def: $sgpr0_sgpr1
	s_waitcnt vmcnt(0)
	v_cmp_ne_u32_e32 vcc, v0, v1
	s_and_saveexec_b64 s[2:3], vcc
	s_xor_b64 s[2:3], exec, s[2:3]
	s_cbranch_execnz .LBB2_410
; %bb.322:                              ;   in Loop: Header=BB2_228 Depth=2
	s_andn2_saveexec_b64 s[2:3], s[2:3]
	s_cbranch_execnz .LBB2_411
.LBB2_323:                              ;   in Loop: Header=BB2_228 Depth=2
	s_or_b64 exec, exec, s[2:3]
	s_and_saveexec_b64 s[2:3], s[0:1]
	s_cbranch_execz .LBB2_325
.LBB2_324:                              ;   in Loop: Header=BB2_228 Depth=2
	scratch_load_dwordx4 v[0:3], off, off
	scratch_load_dwordx4 v[6:9], off, s89
	s_waitcnt vmcnt(0)
	scratch_store_dwordx4 off, v[0:3], s89
	scratch_load_dword v0, off, off offset:60
	ds_write2_b32 v102, v8, v9 offset0:2 offset1:3
	ds_write2_b32 v102, v6, v7 offset1:1
	scratch_store_dwordx4 off, v[6:9], off
.LBB2_325:                              ;   in Loop: Header=BB2_228 Depth=2
	s_or_b64 exec, exec, s[2:3]
	scratch_load_dword v1, off, off offset:28
                                        ; implicit-def: $sgpr0_sgpr1
	s_waitcnt vmcnt(0)
	v_cmp_ne_u32_e32 vcc, v0, v1
	s_and_saveexec_b64 s[2:3], vcc
	s_xor_b64 s[2:3], exec, s[2:3]
	s_cbranch_execnz .LBB2_416
; %bb.326:                              ;   in Loop: Header=BB2_228 Depth=2
	s_andn2_saveexec_b64 s[2:3], s[2:3]
	s_cbranch_execnz .LBB2_417
.LBB2_327:                              ;   in Loop: Header=BB2_228 Depth=2
	s_or_b64 exec, exec, s[2:3]
	s_and_saveexec_b64 s[2:3], s[0:1]
	s_cbranch_execz .LBB2_329
.LBB2_328:                              ;   in Loop: Header=BB2_228 Depth=2
	scratch_load_dwordx4 v[0:3], off, s41
	scratch_load_dwordx4 v[6:9], off, s89
	s_waitcnt vmcnt(0)
	scratch_store_dwordx4 off, v[0:3], s89
	scratch_load_dword v0, off, off offset:60
	ds_write2_b32 v102, v8, v9 offset0:2 offset1:3
	ds_write2_b32 v102, v6, v7 offset1:1
	scratch_store_dwordx4 off, v[6:9], s41
.LBB2_329:                              ;   in Loop: Header=BB2_228 Depth=2
	s_or_b64 exec, exec, s[2:3]
	scratch_load_dword v1, off, off offset:44
                                        ; implicit-def: $sgpr0_sgpr1
	s_waitcnt vmcnt(0)
	v_cmp_ne_u32_e32 vcc, v0, v1
	s_and_saveexec_b64 s[2:3], vcc
	s_xor_b64 s[2:3], exec, s[2:3]
	s_cbranch_execnz .LBB2_422
; %bb.330:                              ;   in Loop: Header=BB2_228 Depth=2
	s_andn2_saveexec_b64 s[2:3], s[2:3]
	s_cbranch_execnz .LBB2_423
.LBB2_331:                              ;   in Loop: Header=BB2_228 Depth=2
	s_or_b64 exec, exec, s[2:3]
	s_and_saveexec_b64 s[2:3], s[0:1]
	s_cbranch_execz .LBB2_333
.LBB2_332:                              ;   in Loop: Header=BB2_228 Depth=2
	scratch_load_dwordx4 v[0:3], off, s89
	scratch_load_dwordx4 v[6:9], off, s88
	s_waitcnt vmcnt(0)
	ds_write2_b32 v102, v2, v3 offset0:2 offset1:3
	ds_write2_b32 v102, v0, v1 offset1:1
	scratch_store_dwordx4 off, v[6:9], s89
	scratch_store_dwordx4 off, v[0:3], s88
.LBB2_333:                              ;   in Loop: Header=BB2_228 Depth=2
	s_or_b64 exec, exec, s[2:3]
	scratch_load_dword v29, off, off offset:12
	scratch_load_dword v28, off, off offset:28
	s_waitcnt vmcnt(0)
	v_cmp_lt_i32_e32 vcc, v29, v28
	s_and_saveexec_b64 s[2:3], vcc
	s_cbranch_execz .LBB2_545
; %bb.334:                              ;   in Loop: Header=BB2_228 Depth=2
	s_load_dwordx2 s[4:5], s[60:61], 0x50
	v_readfirstlane_b32 s0, v105
	v_mov_b64_e32 v[6:7], 0
	s_nop 0
	v_cmp_eq_u32_e64 s[0:1], s0, v105
	s_and_saveexec_b64 s[12:13], s[0:1]
	s_cbranch_execz .LBB2_340
; %bb.335:                              ;   in Loop: Header=BB2_228 Depth=2
	s_waitcnt lgkmcnt(0)
	global_load_dwordx2 v[2:3], v47, s[4:5] offset:24 sc0 sc1
	s_waitcnt vmcnt(0)
	buffer_inv sc0 sc1
	global_load_dwordx2 v[0:1], v47, s[4:5] offset:40
	global_load_dwordx2 v[6:7], v47, s[4:5]
	s_waitcnt vmcnt(1)
	v_and_b32_e32 v0, v0, v2
	v_and_b32_e32 v1, v1, v3
	v_mul_lo_u32 v1, v1, 24
	v_mul_hi_u32 v8, v0, 24
	v_add_u32_e32 v1, v8, v1
	v_mul_lo_u32 v0, v0, 24
	s_waitcnt vmcnt(0)
	v_lshl_add_u64 v[0:1], v[6:7], 0, v[0:1]
	global_load_dwordx2 v[0:1], v[0:1], off sc0 sc1
	s_waitcnt vmcnt(0)
	global_atomic_cmpswap_x2 v[6:7], v47, v[0:3], s[4:5] offset:24 sc0 sc1
	s_waitcnt vmcnt(0)
	buffer_inv sc0 sc1
	v_cmp_ne_u64_e32 vcc, v[6:7], v[2:3]
	s_and_saveexec_b64 s[14:15], vcc
	s_cbranch_execz .LBB2_339
; %bb.336:                              ;   in Loop: Header=BB2_228 Depth=2
	s_mov_b64 s[16:17], 0
.LBB2_337:                              ;   Parent Loop BB2_13 Depth=1
                                        ;     Parent Loop BB2_228 Depth=2
                                        ; =>    This Inner Loop Header: Depth=3
	s_sleep 1
	global_load_dwordx2 v[0:1], v47, s[4:5] offset:40
	global_load_dwordx2 v[8:9], v47, s[4:5]
	v_mov_b64_e32 v[2:3], v[6:7]
	s_waitcnt vmcnt(1)
	v_and_b32_e32 v0, v0, v2
	v_and_b32_e32 v7, v1, v3
	s_waitcnt vmcnt(0)
	v_mad_u64_u32 v[0:1], s[18:19], v0, 24, v[8:9]
	v_mov_b32_e32 v6, v1
	v_mad_u64_u32 v[6:7], s[18:19], v7, 24, v[6:7]
	v_mov_b32_e32 v1, v6
	global_load_dwordx2 v[0:1], v[0:1], off sc0 sc1
	s_waitcnt vmcnt(0)
	global_atomic_cmpswap_x2 v[6:7], v47, v[0:3], s[4:5] offset:24 sc0 sc1
	s_waitcnt vmcnt(0)
	buffer_inv sc0 sc1
	v_cmp_eq_u64_e32 vcc, v[6:7], v[2:3]
	s_or_b64 s[16:17], vcc, s[16:17]
	s_andn2_b64 exec, exec, s[16:17]
	s_cbranch_execnz .LBB2_337
; %bb.338:                              ;   in Loop: Header=BB2_228 Depth=2
	s_or_b64 exec, exec, s[16:17]
.LBB2_339:                              ;   in Loop: Header=BB2_228 Depth=2
	s_or_b64 exec, exec, s[14:15]
.LBB2_340:                              ;   in Loop: Header=BB2_228 Depth=2
	s_or_b64 exec, exec, s[12:13]
	s_waitcnt lgkmcnt(0)
	global_load_dwordx2 v[8:9], v47, s[4:5] offset:40
	global_load_dwordx4 v[0:3], v47, s[4:5]
	v_readfirstlane_b32 s13, v7
	v_readfirstlane_b32 s12, v6
	s_mov_b64 s[14:15], exec
	s_waitcnt vmcnt(1)
	v_readfirstlane_b32 s16, v8
	v_readfirstlane_b32 s17, v9
	s_and_b64 s[16:17], s[16:17], s[12:13]
	s_mul_i32 s18, s17, 24
	s_mul_hi_u32 s19, s16, 24
	s_add_i32 s19, s19, s18
	s_mul_i32 s18, s16, 24
	s_waitcnt vmcnt(0)
	v_lshl_add_u64 v[6:7], v[0:1], 0, s[18:19]
	s_and_saveexec_b64 s[18:19], s[0:1]
	s_cbranch_execz .LBB2_342
; %bb.341:                              ;   in Loop: Header=BB2_228 Depth=2
	v_mov_b64_e32 v[56:57], s[14:15]
	global_store_dwordx4 v[6:7], v[56:59], off offset:8
.LBB2_342:                              ;   in Loop: Header=BB2_228 Depth=2
	s_or_b64 exec, exec, s[18:19]
	s_lshl_b64 s[14:15], s[16:17], 12
	s_mov_b32 s57, s56
	v_lshl_add_u64 v[8:9], v[2:3], 0, s[14:15]
	s_mov_b32 s58, s56
	s_mov_b32 s59, s56
	v_mov_b64_e32 v[10:11], s[56:57]
	v_lshlrev_b32_e32 v24, 6, v105
	v_readfirstlane_b32 s14, v8
	v_readfirstlane_b32 s15, v9
	v_mov_b64_e32 v[12:13], s[58:59]
	s_nop 3
	global_store_dwordx4 v24, v[60:63], s[14:15]
	global_store_dwordx4 v24, v[10:13], s[14:15] offset:16
	global_store_dwordx4 v24, v[10:13], s[14:15] offset:32
	;; [unrolled: 1-line block ×3, first 2 shown]
	s_and_saveexec_b64 s[14:15], s[0:1]
	s_cbranch_execz .LBB2_350
; %bb.343:                              ;   in Loop: Header=BB2_228 Depth=2
	global_load_dwordx2 v[14:15], v47, s[4:5] offset:32 sc0 sc1
	global_load_dwordx2 v[2:3], v47, s[4:5] offset:40
	v_mov_b32_e32 v12, s12
	v_mov_b32_e32 v13, s13
	s_waitcnt vmcnt(0)
	v_and_b32_e32 v2, s12, v2
	v_and_b32_e32 v3, s13, v3
	v_mul_lo_u32 v3, v3, 24
	v_mul_hi_u32 v10, v2, 24
	v_mul_lo_u32 v2, v2, 24
	v_add_u32_e32 v3, v10, v3
	v_lshl_add_u64 v[10:11], v[0:1], 0, v[2:3]
	global_store_dwordx2 v[10:11], v[14:15], off
	buffer_wbl2 sc0 sc1
	s_waitcnt vmcnt(0)
	global_atomic_cmpswap_x2 v[2:3], v47, v[12:15], s[4:5] offset:32 sc0 sc1
	s_waitcnt vmcnt(0)
	v_cmp_ne_u64_e32 vcc, v[2:3], v[14:15]
	s_and_saveexec_b64 s[16:17], vcc
	s_cbranch_execz .LBB2_346
; %bb.344:                              ;   in Loop: Header=BB2_228 Depth=2
	s_mov_b64 s[18:19], 0
.LBB2_345:                              ;   Parent Loop BB2_13 Depth=1
                                        ;     Parent Loop BB2_228 Depth=2
                                        ; =>    This Inner Loop Header: Depth=3
	s_sleep 1
	global_store_dwordx2 v[10:11], v[2:3], off
	v_mov_b32_e32 v0, s12
	v_mov_b32_e32 v1, s13
	buffer_wbl2 sc0 sc1
	s_waitcnt vmcnt(0)
	global_atomic_cmpswap_x2 v[0:1], v47, v[0:3], s[4:5] offset:32 sc0 sc1
	s_waitcnt vmcnt(0)
	v_cmp_eq_u64_e32 vcc, v[0:1], v[2:3]
	s_or_b64 s[18:19], vcc, s[18:19]
	v_mov_b64_e32 v[2:3], v[0:1]
	s_andn2_b64 exec, exec, s[18:19]
	s_cbranch_execnz .LBB2_345
.LBB2_346:                              ;   in Loop: Header=BB2_228 Depth=2
	s_or_b64 exec, exec, s[16:17]
	global_load_dwordx2 v[0:1], v47, s[4:5] offset:16
	s_mov_b64 s[18:19], exec
	v_mbcnt_lo_u32_b32 v2, s18, 0
	v_mbcnt_hi_u32_b32 v2, s19, v2
	v_cmp_eq_u32_e32 vcc, 0, v2
	s_and_saveexec_b64 s[16:17], vcc
	s_cbranch_execz .LBB2_348
; %bb.347:                              ;   in Loop: Header=BB2_228 Depth=2
	s_bcnt1_i32_b64 s18, s[18:19]
	v_mov_b32_e32 v46, s18
	buffer_wbl2 sc0 sc1
	s_waitcnt vmcnt(0)
	global_atomic_add_x2 v[0:1], v[46:47], off offset:8 sc1
.LBB2_348:                              ;   in Loop: Header=BB2_228 Depth=2
	s_or_b64 exec, exec, s[16:17]
	s_waitcnt vmcnt(0)
	global_load_dwordx2 v[2:3], v[0:1], off offset:16
	s_waitcnt vmcnt(0)
	v_cmp_eq_u64_e32 vcc, 0, v[2:3]
	s_cbranch_vccnz .LBB2_350
; %bb.349:                              ;   in Loop: Header=BB2_228 Depth=2
	global_load_dword v46, v[0:1], off offset:24
	s_waitcnt vmcnt(0)
	v_readfirstlane_b32 s16, v46
	s_and_b32 m0, s16, 0xffffff
	buffer_wbl2 sc0 sc1
	global_store_dwordx2 v[2:3], v[46:47], off sc0 sc1
	s_sendmsg sendmsg(MSG_INTERRUPT)
.LBB2_350:                              ;   in Loop: Header=BB2_228 Depth=2
	s_or_b64 exec, exec, s[14:15]
	v_mov_b32_e32 v25, v47
	v_lshl_add_u64 v[0:1], v[8:9], 0, v[24:25]
	s_branch .LBB2_354
.LBB2_351:                              ;   in Loop: Header=BB2_354 Depth=3
	s_or_b64 exec, exec, s[14:15]
	v_readfirstlane_b32 s14, v2
	s_cmp_eq_u32 s14, 0
	s_cbranch_scc1 .LBB2_353
; %bb.352:                              ;   in Loop: Header=BB2_354 Depth=3
	s_sleep 1
	s_cbranch_execnz .LBB2_354
	s_branch .LBB2_428
.LBB2_353:                              ;   in Loop: Header=BB2_228 Depth=2
	s_branch .LBB2_428
.LBB2_354:                              ;   Parent Loop BB2_13 Depth=1
                                        ;     Parent Loop BB2_228 Depth=2
                                        ; =>    This Inner Loop Header: Depth=3
	v_mov_b32_e32 v2, 1
	s_and_saveexec_b64 s[14:15], s[0:1]
	s_cbranch_execz .LBB2_351
; %bb.355:                              ;   in Loop: Header=BB2_354 Depth=3
	global_load_dword v2, v[6:7], off offset:20 sc0 sc1
	s_waitcnt vmcnt(0)
	buffer_inv sc0 sc1
	v_and_b32_e32 v2, 1, v2
	s_branch .LBB2_351
.LBB2_356:                              ;   in Loop: Header=BB2_228 Depth=2
	v_cmp_gt_u32_e64 s[0:1], v10, v17
	s_andn2_saveexec_b64 s[2:3], s[2:3]
	s_cbranch_execz .LBB2_287
.LBB2_357:                              ;   in Loop: Header=BB2_228 Depth=2
	v_cmp_ne_u32_e32 vcc, v6, v7
                                        ; implicit-def: $sgpr4_sgpr5
	s_and_saveexec_b64 s[12:13], vcc
	s_xor_b64 s[12:13], exec, s[12:13]
; %bb.358:                              ;   in Loop: Header=BB2_228 Depth=2
	v_cmp_gt_u32_e64 s[4:5], v6, v7
; %bb.359:                              ;   in Loop: Header=BB2_228 Depth=2
	s_andn2_saveexec_b64 s[12:13], s[12:13]
; %bb.360:                              ;   in Loop: Header=BB2_228 Depth=2
	v_cmp_ge_u32_e32 vcc, v0, v1
	s_andn2_b64 s[4:5], s[4:5], exec
	s_and_b64 s[14:15], vcc, exec
	s_or_b64 s[4:5], s[4:5], s[14:15]
; %bb.361:                              ;   in Loop: Header=BB2_228 Depth=2
	s_or_b64 exec, exec, s[12:13]
	s_andn2_b64 s[0:1], s[0:1], exec
	s_and_b64 s[4:5], s[4:5], exec
	s_or_b64 s[0:1], s[0:1], s[4:5]
	s_or_b64 exec, exec, s[2:3]
	s_and_saveexec_b64 s[2:3], s[0:1]
	s_cbranch_execnz .LBB2_288
	s_branch .LBB2_289
.LBB2_362:                              ;   in Loop: Header=BB2_228 Depth=2
	v_cmp_gt_u32_e64 s[0:1], v10, v11
	s_andn2_saveexec_b64 s[2:3], s[2:3]
	s_cbranch_execz .LBB2_291
.LBB2_363:                              ;   in Loop: Header=BB2_228 Depth=2
	scratch_load_dword v0, off, off offset:4
                                        ; implicit-def: $sgpr4_sgpr5
	s_waitcnt vmcnt(0)
	v_cmp_ne_u32_e32 vcc, v0, v8
	s_and_saveexec_b64 s[12:13], vcc
	s_xor_b64 s[12:13], exec, s[12:13]
; %bb.364:                              ;   in Loop: Header=BB2_228 Depth=2
	v_cmp_gt_u32_e64 s[4:5], v0, v8
; %bb.365:                              ;   in Loop: Header=BB2_228 Depth=2
	s_andn2_saveexec_b64 s[12:13], s[12:13]
	s_cbranch_execz .LBB2_367
; %bb.366:                              ;   in Loop: Header=BB2_228 Depth=2
	scratch_load_dword v0, off, off offset:8
	s_andn2_b64 s[4:5], s[4:5], exec
	s_waitcnt vmcnt(0)
	v_cmp_ge_u32_e32 vcc, v0, v2
	s_and_b64 s[14:15], vcc, exec
	s_or_b64 s[4:5], s[4:5], s[14:15]
.LBB2_367:                              ;   in Loop: Header=BB2_228 Depth=2
	s_or_b64 exec, exec, s[12:13]
	s_andn2_b64 s[0:1], s[0:1], exec
	s_and_b64 s[4:5], s[4:5], exec
	s_or_b64 s[0:1], s[0:1], s[4:5]
	s_or_b64 exec, exec, s[2:3]
	s_and_saveexec_b64 s[2:3], s[0:1]
	s_cbranch_execnz .LBB2_292
	s_branch .LBB2_293
.LBB2_368:                              ;   in Loop: Header=BB2_228 Depth=2
	v_cmp_gt_u32_e64 s[0:1], v10, v16
                                        ; implicit-def: $vgpr0_vgpr1_vgpr2_vgpr3
                                        ; implicit-def: $vgpr6_vgpr7_vgpr8_vgpr9
	s_andn2_saveexec_b64 s[2:3], s[2:3]
	s_cbranch_execz .LBB2_295
.LBB2_369:                              ;   in Loop: Header=BB2_228 Depth=2
	scratch_load_dword v0, off, off offset:4
                                        ; implicit-def: $sgpr4_sgpr5
	s_waitcnt vmcnt(0)
	v_cmp_ne_u32_e32 vcc, v0, v9
	s_and_saveexec_b64 s[12:13], vcc
	s_xor_b64 s[12:13], exec, s[12:13]
; %bb.370:                              ;   in Loop: Header=BB2_228 Depth=2
	v_cmp_gt_u32_e64 s[4:5], v0, v9
                                        ; implicit-def: $vgpr0_vgpr1_vgpr2_vgpr3
; %bb.371:                              ;   in Loop: Header=BB2_228 Depth=2
	s_andn2_saveexec_b64 s[12:13], s[12:13]
	s_cbranch_execz .LBB2_373
; %bb.372:                              ;   in Loop: Header=BB2_228 Depth=2
	scratch_load_dword v0, off, off offset:8
	s_andn2_b64 s[4:5], s[4:5], exec
	s_waitcnt vmcnt(0)
	v_cmp_ge_u32_e32 vcc, v0, v3
	s_and_b64 s[14:15], vcc, exec
	s_or_b64 s[4:5], s[4:5], s[14:15]
.LBB2_373:                              ;   in Loop: Header=BB2_228 Depth=2
	s_or_b64 exec, exec, s[12:13]
	s_andn2_b64 s[0:1], s[0:1], exec
	s_and_b64 s[4:5], s[4:5], exec
	s_or_b64 s[0:1], s[0:1], s[4:5]
	s_or_b64 exec, exec, s[2:3]
	s_and_saveexec_b64 s[2:3], s[0:1]
	s_cbranch_execnz .LBB2_296
	s_branch .LBB2_297
.LBB2_374:                              ;   in Loop: Header=BB2_228 Depth=2
	v_cmp_gt_u32_e64 s[0:1], v0, v10
	s_andn2_saveexec_b64 s[2:3], s[2:3]
	s_cbranch_execz .LBB2_299
.LBB2_375:                              ;   in Loop: Header=BB2_228 Depth=2
	scratch_load_dword v1, off, off offset:20
	scratch_load_dword v2, off, off offset:4
                                        ; implicit-def: $sgpr4_sgpr5
	s_waitcnt vmcnt(0)
	v_cmp_ne_u32_e32 vcc, v1, v2
	s_and_saveexec_b64 s[12:13], vcc
	s_xor_b64 s[12:13], exec, s[12:13]
; %bb.376:                              ;   in Loop: Header=BB2_228 Depth=2
	v_cmp_gt_u32_e64 s[4:5], v1, v2
; %bb.377:                              ;   in Loop: Header=BB2_228 Depth=2
	s_andn2_saveexec_b64 s[12:13], s[12:13]
	s_cbranch_execz .LBB2_379
; %bb.378:                              ;   in Loop: Header=BB2_228 Depth=2
	scratch_load_dword v1, off, off offset:8
	scratch_load_dword v2, off, off offset:24
	s_andn2_b64 s[4:5], s[4:5], exec
	s_waitcnt vmcnt(0)
	v_cmp_ge_u32_e32 vcc, v2, v1
	s_and_b64 s[14:15], vcc, exec
	s_or_b64 s[4:5], s[4:5], s[14:15]
.LBB2_379:                              ;   in Loop: Header=BB2_228 Depth=2
	s_or_b64 exec, exec, s[12:13]
	s_andn2_b64 s[0:1], s[0:1], exec
	s_and_b64 s[4:5], s[4:5], exec
	s_or_b64 s[0:1], s[0:1], s[4:5]
	s_or_b64 exec, exec, s[2:3]
	s_and_saveexec_b64 s[2:3], s[0:1]
	s_cbranch_execnz .LBB2_300
	s_branch .LBB2_301
.LBB2_380:                              ;   in Loop: Header=BB2_228 Depth=2
	v_cmp_gt_u32_e64 s[0:1], v0, v1
	s_andn2_saveexec_b64 s[2:3], s[2:3]
	s_cbranch_execz .LBB2_303
.LBB2_381:                              ;   in Loop: Header=BB2_228 Depth=2
	scratch_load_dword v1, off, off offset:20
	scratch_load_dword v2, off, off offset:36
                                        ; implicit-def: $sgpr4_sgpr5
	s_waitcnt vmcnt(0)
	v_cmp_ne_u32_e32 vcc, v1, v2
	s_and_saveexec_b64 s[12:13], vcc
	s_xor_b64 s[12:13], exec, s[12:13]
; %bb.382:                              ;   in Loop: Header=BB2_228 Depth=2
	v_cmp_gt_u32_e64 s[4:5], v1, v2
; %bb.383:                              ;   in Loop: Header=BB2_228 Depth=2
	s_andn2_saveexec_b64 s[12:13], s[12:13]
	s_cbranch_execz .LBB2_385
; %bb.384:                              ;   in Loop: Header=BB2_228 Depth=2
	scratch_load_dword v1, off, off offset:40
	scratch_load_dword v2, off, off offset:24
	s_andn2_b64 s[4:5], s[4:5], exec
	s_waitcnt vmcnt(0)
	v_cmp_ge_u32_e32 vcc, v2, v1
	s_and_b64 s[14:15], vcc, exec
	s_or_b64 s[4:5], s[4:5], s[14:15]
.LBB2_385:                              ;   in Loop: Header=BB2_228 Depth=2
	s_or_b64 exec, exec, s[12:13]
	s_andn2_b64 s[0:1], s[0:1], exec
	s_and_b64 s[4:5], s[4:5], exec
	s_or_b64 s[0:1], s[0:1], s[4:5]
	s_or_b64 exec, exec, s[2:3]
	s_and_saveexec_b64 s[2:3], s[0:1]
	s_cbranch_execnz .LBB2_304
	s_branch .LBB2_305
.LBB2_386:                              ;   in Loop: Header=BB2_228 Depth=2
	v_cmp_gt_u32_e64 s[0:1], v0, v1
	s_andn2_saveexec_b64 s[2:3], s[2:3]
	s_cbranch_execz .LBB2_307
.LBB2_387:                              ;   in Loop: Header=BB2_228 Depth=2
	scratch_load_dword v0, off, off offset:20
	scratch_load_dword v1, off, off offset:52
                                        ; implicit-def: $sgpr4_sgpr5
	s_waitcnt vmcnt(0)
	v_cmp_ne_u32_e32 vcc, v0, v1
	s_and_saveexec_b64 s[12:13], vcc
	s_xor_b64 s[12:13], exec, s[12:13]
; %bb.388:                              ;   in Loop: Header=BB2_228 Depth=2
	v_cmp_gt_u32_e64 s[4:5], v0, v1
; %bb.389:                              ;   in Loop: Header=BB2_228 Depth=2
	s_andn2_saveexec_b64 s[12:13], s[12:13]
	s_cbranch_execz .LBB2_391
; %bb.390:                              ;   in Loop: Header=BB2_228 Depth=2
	scratch_load_dword v0, off, off offset:56
	scratch_load_dword v1, off, off offset:24
	s_andn2_b64 s[4:5], s[4:5], exec
	s_waitcnt vmcnt(0)
	v_cmp_ge_u32_e32 vcc, v1, v0
	s_and_b64 s[14:15], vcc, exec
	s_or_b64 s[4:5], s[4:5], s[14:15]
.LBB2_391:                              ;   in Loop: Header=BB2_228 Depth=2
	s_or_b64 exec, exec, s[12:13]
	s_andn2_b64 s[0:1], s[0:1], exec
	s_and_b64 s[4:5], s[4:5], exec
	s_or_b64 s[0:1], s[0:1], s[4:5]
	s_or_b64 exec, exec, s[2:3]
	s_and_saveexec_b64 s[2:3], s[0:1]
	s_cbranch_execnz .LBB2_308
	s_branch .LBB2_309
.LBB2_392:                              ;   in Loop: Header=BB2_228 Depth=2
	v_cmp_gt_u32_e64 s[0:1], v1, v0
	s_andn2_saveexec_b64 s[2:3], s[2:3]
	s_cbranch_execz .LBB2_311
.LBB2_393:                              ;   in Loop: Header=BB2_228 Depth=2
	scratch_load_dword v0, off, off offset:36
	scratch_load_dword v2, off, off offset:4
                                        ; implicit-def: $sgpr4_sgpr5
	s_waitcnt vmcnt(0)
	v_cmp_ne_u32_e32 vcc, v0, v2
	s_and_saveexec_b64 s[12:13], vcc
	s_xor_b64 s[12:13], exec, s[12:13]
; %bb.394:                              ;   in Loop: Header=BB2_228 Depth=2
	v_cmp_gt_u32_e64 s[4:5], v0, v2
; %bb.395:                              ;   in Loop: Header=BB2_228 Depth=2
	s_andn2_saveexec_b64 s[12:13], s[12:13]
	s_cbranch_execz .LBB2_397
; %bb.396:                              ;   in Loop: Header=BB2_228 Depth=2
	scratch_load_dword v0, off, off offset:8
	scratch_load_dword v2, off, off offset:40
	s_andn2_b64 s[4:5], s[4:5], exec
	s_waitcnt vmcnt(0)
	v_cmp_ge_u32_e32 vcc, v2, v0
	s_and_b64 s[14:15], vcc, exec
	s_or_b64 s[4:5], s[4:5], s[14:15]
.LBB2_397:                              ;   in Loop: Header=BB2_228 Depth=2
	s_or_b64 exec, exec, s[12:13]
	s_andn2_b64 s[0:1], s[0:1], exec
	s_and_b64 s[4:5], s[4:5], exec
	s_or_b64 s[0:1], s[0:1], s[4:5]
	s_or_b64 exec, exec, s[2:3]
	s_and_saveexec_b64 s[2:3], s[0:1]
	s_cbranch_execnz .LBB2_312
	s_branch .LBB2_313
.LBB2_398:                              ;   in Loop: Header=BB2_228 Depth=2
	v_cmp_gt_u32_e64 s[0:1], v1, v0
	s_andn2_saveexec_b64 s[2:3], s[2:3]
	s_cbranch_execz .LBB2_315
.LBB2_399:                              ;   in Loop: Header=BB2_228 Depth=2
	scratch_load_dword v0, off, off offset:36
	scratch_load_dword v2, off, off offset:20
                                        ; implicit-def: $sgpr4_sgpr5
	s_waitcnt vmcnt(0)
	v_cmp_ne_u32_e32 vcc, v0, v2
	s_and_saveexec_b64 s[12:13], vcc
	s_xor_b64 s[12:13], exec, s[12:13]
; %bb.400:                              ;   in Loop: Header=BB2_228 Depth=2
	v_cmp_gt_u32_e64 s[4:5], v0, v2
; %bb.401:                              ;   in Loop: Header=BB2_228 Depth=2
	s_andn2_saveexec_b64 s[12:13], s[12:13]
	s_cbranch_execz .LBB2_403
; %bb.402:                              ;   in Loop: Header=BB2_228 Depth=2
	scratch_load_dword v0, off, off offset:24
	scratch_load_dword v2, off, off offset:40
	s_andn2_b64 s[4:5], s[4:5], exec
	s_waitcnt vmcnt(0)
	v_cmp_ge_u32_e32 vcc, v2, v0
	s_and_b64 s[14:15], vcc, exec
	s_or_b64 s[4:5], s[4:5], s[14:15]
.LBB2_403:                              ;   in Loop: Header=BB2_228 Depth=2
	s_or_b64 exec, exec, s[12:13]
	s_andn2_b64 s[0:1], s[0:1], exec
	s_and_b64 s[4:5], s[4:5], exec
	s_or_b64 s[0:1], s[0:1], s[4:5]
	s_or_b64 exec, exec, s[2:3]
	s_and_saveexec_b64 s[2:3], s[0:1]
	s_cbranch_execnz .LBB2_316
	s_branch .LBB2_317
.LBB2_404:                              ;   in Loop: Header=BB2_228 Depth=2
	v_cmp_gt_u32_e64 s[0:1], v1, v0
	s_andn2_saveexec_b64 s[2:3], s[2:3]
	s_cbranch_execz .LBB2_319
.LBB2_405:                              ;   in Loop: Header=BB2_228 Depth=2
	scratch_load_dword v1, off, off offset:36
	scratch_load_dword v2, off, off offset:52
                                        ; implicit-def: $sgpr4_sgpr5
	s_waitcnt vmcnt(0)
	v_cmp_ne_u32_e32 vcc, v1, v2
	s_and_saveexec_b64 s[12:13], vcc
	s_xor_b64 s[12:13], exec, s[12:13]
; %bb.406:                              ;   in Loop: Header=BB2_228 Depth=2
	v_cmp_gt_u32_e64 s[4:5], v1, v2
; %bb.407:                              ;   in Loop: Header=BB2_228 Depth=2
	s_andn2_saveexec_b64 s[12:13], s[12:13]
	s_cbranch_execz .LBB2_409
; %bb.408:                              ;   in Loop: Header=BB2_228 Depth=2
	scratch_load_dword v1, off, off offset:56
	scratch_load_dword v2, off, off offset:40
	s_andn2_b64 s[4:5], s[4:5], exec
	s_waitcnt vmcnt(0)
	v_cmp_ge_u32_e32 vcc, v2, v1
	s_and_b64 s[14:15], vcc, exec
	s_or_b64 s[4:5], s[4:5], s[14:15]
.LBB2_409:                              ;   in Loop: Header=BB2_228 Depth=2
	s_or_b64 exec, exec, s[12:13]
	s_andn2_b64 s[0:1], s[0:1], exec
	s_and_b64 s[4:5], s[4:5], exec
	s_or_b64 s[0:1], s[0:1], s[4:5]
	s_or_b64 exec, exec, s[2:3]
	s_and_saveexec_b64 s[2:3], s[0:1]
	s_cbranch_execnz .LBB2_320
	s_branch .LBB2_321
.LBB2_410:                              ;   in Loop: Header=BB2_228 Depth=2
	v_cmp_gt_u32_e64 s[0:1], v0, v1
	s_andn2_saveexec_b64 s[2:3], s[2:3]
	s_cbranch_execz .LBB2_323
.LBB2_411:                              ;   in Loop: Header=BB2_228 Depth=2
	scratch_load_dword v1, off, off offset:52
	scratch_load_dword v2, off, off offset:4
                                        ; implicit-def: $sgpr4_sgpr5
	s_waitcnt vmcnt(0)
	v_cmp_ne_u32_e32 vcc, v1, v2
	s_and_saveexec_b64 s[12:13], vcc
	s_xor_b64 s[12:13], exec, s[12:13]
; %bb.412:                              ;   in Loop: Header=BB2_228 Depth=2
	v_cmp_gt_u32_e64 s[4:5], v1, v2
; %bb.413:                              ;   in Loop: Header=BB2_228 Depth=2
	s_andn2_saveexec_b64 s[12:13], s[12:13]
	s_cbranch_execz .LBB2_415
; %bb.414:                              ;   in Loop: Header=BB2_228 Depth=2
	scratch_load_dword v1, off, off offset:8
	scratch_load_dword v2, off, off offset:56
	s_andn2_b64 s[4:5], s[4:5], exec
	s_waitcnt vmcnt(0)
	v_cmp_ge_u32_e32 vcc, v2, v1
	s_and_b64 s[14:15], vcc, exec
	s_or_b64 s[4:5], s[4:5], s[14:15]
.LBB2_415:                              ;   in Loop: Header=BB2_228 Depth=2
	s_or_b64 exec, exec, s[12:13]
	s_andn2_b64 s[0:1], s[0:1], exec
	s_and_b64 s[4:5], s[4:5], exec
	s_or_b64 s[0:1], s[0:1], s[4:5]
	s_or_b64 exec, exec, s[2:3]
	s_and_saveexec_b64 s[2:3], s[0:1]
	s_cbranch_execnz .LBB2_324
	s_branch .LBB2_325
.LBB2_416:                              ;   in Loop: Header=BB2_228 Depth=2
	v_cmp_gt_u32_e64 s[0:1], v0, v1
	s_andn2_saveexec_b64 s[2:3], s[2:3]
	s_cbranch_execz .LBB2_327
.LBB2_417:                              ;   in Loop: Header=BB2_228 Depth=2
	scratch_load_dword v1, off, off offset:52
	scratch_load_dword v2, off, off offset:20
                                        ; implicit-def: $sgpr4_sgpr5
	s_waitcnt vmcnt(0)
	v_cmp_ne_u32_e32 vcc, v1, v2
	s_and_saveexec_b64 s[12:13], vcc
	s_xor_b64 s[12:13], exec, s[12:13]
; %bb.418:                              ;   in Loop: Header=BB2_228 Depth=2
	v_cmp_gt_u32_e64 s[4:5], v1, v2
; %bb.419:                              ;   in Loop: Header=BB2_228 Depth=2
	s_andn2_saveexec_b64 s[12:13], s[12:13]
	s_cbranch_execz .LBB2_421
; %bb.420:                              ;   in Loop: Header=BB2_228 Depth=2
	scratch_load_dword v1, off, off offset:24
	scratch_load_dword v2, off, off offset:56
	s_andn2_b64 s[4:5], s[4:5], exec
	s_waitcnt vmcnt(0)
	v_cmp_ge_u32_e32 vcc, v2, v1
	s_and_b64 s[14:15], vcc, exec
	s_or_b64 s[4:5], s[4:5], s[14:15]
.LBB2_421:                              ;   in Loop: Header=BB2_228 Depth=2
	s_or_b64 exec, exec, s[12:13]
	s_andn2_b64 s[0:1], s[0:1], exec
	s_and_b64 s[4:5], s[4:5], exec
	s_or_b64 s[0:1], s[0:1], s[4:5]
	s_or_b64 exec, exec, s[2:3]
	s_and_saveexec_b64 s[2:3], s[0:1]
	s_cbranch_execnz .LBB2_328
	s_branch .LBB2_329
.LBB2_422:                              ;   in Loop: Header=BB2_228 Depth=2
	v_cmp_gt_u32_e64 s[0:1], v0, v1
	s_andn2_saveexec_b64 s[2:3], s[2:3]
	s_cbranch_execz .LBB2_331
.LBB2_423:                              ;   in Loop: Header=BB2_228 Depth=2
	scratch_load_dword v0, off, off offset:52
	scratch_load_dword v1, off, off offset:36
                                        ; implicit-def: $sgpr4_sgpr5
	s_waitcnt vmcnt(0)
	v_cmp_ne_u32_e32 vcc, v0, v1
	s_and_saveexec_b64 s[12:13], vcc
	s_xor_b64 s[12:13], exec, s[12:13]
; %bb.424:                              ;   in Loop: Header=BB2_228 Depth=2
	v_cmp_gt_u32_e64 s[4:5], v0, v1
; %bb.425:                              ;   in Loop: Header=BB2_228 Depth=2
	s_andn2_saveexec_b64 s[12:13], s[12:13]
	s_cbranch_execz .LBB2_427
; %bb.426:                              ;   in Loop: Header=BB2_228 Depth=2
	scratch_load_dword v0, off, off offset:40
	scratch_load_dword v1, off, off offset:56
	s_andn2_b64 s[4:5], s[4:5], exec
	s_waitcnt vmcnt(0)
	v_cmp_ge_u32_e32 vcc, v1, v0
	s_and_b64 s[14:15], vcc, exec
	s_or_b64 s[4:5], s[4:5], s[14:15]
.LBB2_427:                              ;   in Loop: Header=BB2_228 Depth=2
	s_or_b64 exec, exec, s[12:13]
	s_andn2_b64 s[0:1], s[0:1], exec
	s_and_b64 s[4:5], s[4:5], exec
	s_or_b64 s[0:1], s[0:1], s[4:5]
	s_or_b64 exec, exec, s[2:3]
	s_and_saveexec_b64 s[2:3], s[0:1]
	s_cbranch_execnz .LBB2_332
	s_branch .LBB2_333
.LBB2_428:                              ;   in Loop: Header=BB2_228 Depth=2
	global_load_dwordx2 v[44:45], v[0:1], off
	s_and_saveexec_b64 s[14:15], s[0:1]
	s_cbranch_execz .LBB2_432
; %bb.429:                              ;   in Loop: Header=BB2_228 Depth=2
	global_load_dwordx2 v[0:1], v47, s[4:5] offset:40
	global_load_dwordx2 v[10:11], v47, s[4:5] offset:24 sc0 sc1
	global_load_dwordx2 v[2:3], v47, s[4:5]
	s_waitcnt vmcnt(2)
	v_readfirstlane_b32 s16, v0
	v_readfirstlane_b32 s17, v1
	s_add_u32 s18, s16, 1
	s_addc_u32 s19, s17, 0
	s_add_u32 s0, s18, s12
	s_addc_u32 s1, s19, s13
	s_cmp_eq_u64 s[0:1], 0
	s_cselect_b32 s1, s19, s1
	s_cselect_b32 s0, s18, s0
	s_and_b64 s[12:13], s[0:1], s[16:17]
	s_mul_i32 s13, s13, 24
	s_mul_hi_u32 s16, s12, 24
	s_mul_i32 s12, s12, 24
	s_add_i32 s13, s16, s13
	s_waitcnt vmcnt(0)
	v_lshl_add_u64 v[6:7], v[2:3], 0, s[12:13]
	v_mov_b32_e32 v8, s0
	global_store_dwordx2 v[6:7], v[10:11], off
	v_mov_b32_e32 v9, s1
	buffer_wbl2 sc0 sc1
	s_waitcnt vmcnt(0)
	global_atomic_cmpswap_x2 v[2:3], v47, v[8:11], s[4:5] offset:24 sc0 sc1
	s_waitcnt vmcnt(0)
	v_cmp_ne_u64_e32 vcc, v[2:3], v[10:11]
	s_and_b64 exec, exec, vcc
	s_cbranch_execz .LBB2_432
; %bb.430:                              ;   in Loop: Header=BB2_228 Depth=2
	s_mov_b64 s[12:13], 0
.LBB2_431:                              ;   Parent Loop BB2_13 Depth=1
                                        ;     Parent Loop BB2_228 Depth=2
                                        ; =>    This Inner Loop Header: Depth=3
	s_sleep 1
	global_store_dwordx2 v[6:7], v[2:3], off
	v_mov_b32_e32 v0, s0
	v_mov_b32_e32 v1, s1
	buffer_wbl2 sc0 sc1
	s_waitcnt vmcnt(0)
	global_atomic_cmpswap_x2 v[0:1], v47, v[0:3], s[4:5] offset:24 sc0 sc1
	s_waitcnt vmcnt(0)
	v_cmp_eq_u64_e32 vcc, v[0:1], v[2:3]
	s_or_b64 s[12:13], vcc, s[12:13]
	v_mov_b64_e32 v[2:3], v[0:1]
	s_andn2_b64 exec, exec, s[12:13]
	s_cbranch_execnz .LBB2_431
.LBB2_432:                              ;   in Loop: Header=BB2_228 Depth=2
	s_or_b64 exec, exec, s[14:15]
	s_and_b64 vcc, exec, s[72:73]
	s_cbranch_vccz .LBB2_518
; %bb.433:                              ;   in Loop: Header=BB2_228 Depth=2
	s_waitcnt vmcnt(0)
	v_and_b32_e32 v0, -3, v44
	v_mov_b32_e32 v1, v45
	s_mov_b64 s[14:15], 53
	s_getpc_b64 s[12:13]
	s_add_u32 s12, s12, .str.4@rel32@lo+4
	s_addc_u32 s13, s13, .str.4@rel32@hi+12
	s_branch .LBB2_435
.LBB2_434:                              ;   in Loop: Header=BB2_435 Depth=3
	s_or_b64 exec, exec, s[20:21]
	s_sub_u32 s14, s14, s16
	s_subb_u32 s15, s15, s17
	s_add_u32 s12, s12, s16
	s_addc_u32 s13, s13, s17
	s_cmp_lg_u64 s[14:15], 0
	s_cbranch_scc0 .LBB2_517
.LBB2_435:                              ;   Parent Loop BB2_13 Depth=1
                                        ;     Parent Loop BB2_228 Depth=2
                                        ; =>    This Loop Header: Depth=3
                                        ;         Child Loop BB2_438 Depth 4
                                        ;         Child Loop BB2_446 Depth 4
                                        ;         Child Loop BB2_454 Depth 4
                                        ;         Child Loop BB2_462 Depth 4
                                        ;         Child Loop BB2_470 Depth 4
                                        ;         Child Loop BB2_478 Depth 4
                                        ;         Child Loop BB2_486 Depth 4
                                        ;         Child Loop BB2_494 Depth 4
                                        ;         Child Loop BB2_502 Depth 4
                                        ;         Child Loop BB2_511 Depth 4
                                        ;         Child Loop BB2_516 Depth 4
	v_cmp_lt_u64_e64 s[0:1], s[14:15], 56
	s_and_b64 s[0:1], s[0:1], exec
	s_cselect_b32 s17, s15, 0
	s_cselect_b32 s16, s14, 56
	v_cmp_gt_u64_e64 s[18:19], s[14:15], 7
	s_add_u32 s0, s12, 8
	s_addc_u32 s1, s13, 0
	s_and_b64 vcc, exec, s[18:19]
	s_cbranch_vccnz .LBB2_439
; %bb.436:                              ;   in Loop: Header=BB2_435 Depth=3
	s_cmp_eq_u64 s[14:15], 0
	s_cbranch_scc1 .LBB2_440
; %bb.437:                              ;   in Loop: Header=BB2_435 Depth=3
	s_lshl_b64 s[0:1], s[16:17], 3
	s_mov_b64 s[18:19], 0
	s_waitcnt vmcnt(0)
	v_mov_b64_e32 v[2:3], 0
	s_mov_b64 s[20:21], s[12:13]
.LBB2_438:                              ;   Parent Loop BB2_13 Depth=1
                                        ;     Parent Loop BB2_228 Depth=2
                                        ;       Parent Loop BB2_435 Depth=3
                                        ; =>      This Inner Loop Header: Depth=4
	global_load_ubyte v6, v47, s[20:21]
	s_waitcnt vmcnt(0)
	v_and_b32_e32 v46, 0xffff, v6
	v_lshlrev_b64 v[6:7], s18, v[46:47]
	s_add_u32 s18, s18, 8
	s_addc_u32 s19, s19, 0
	s_add_u32 s20, s20, 1
	s_addc_u32 s21, s21, 0
	v_or_b32_e32 v2, v6, v2
	s_cmp_lg_u32 s0, s18
	v_or_b32_e32 v3, v7, v3
	s_cbranch_scc1 .LBB2_438
	s_branch .LBB2_441
.LBB2_439:                              ;   in Loop: Header=BB2_435 Depth=3
	s_mov_b32 s22, 0
	s_branch .LBB2_442
.LBB2_440:                              ;   in Loop: Header=BB2_435 Depth=3
	s_waitcnt vmcnt(0)
	v_mov_b64_e32 v[2:3], 0
.LBB2_441:                              ;   in Loop: Header=BB2_435 Depth=3
	s_mov_b64 s[0:1], s[12:13]
	s_mov_b32 s22, 0
	s_cbranch_execnz .LBB2_443
.LBB2_442:                              ;   in Loop: Header=BB2_435 Depth=3
	global_load_dwordx2 v[2:3], v47, s[12:13]
	s_add_i32 s22, s16, -8
.LBB2_443:                              ;   in Loop: Header=BB2_435 Depth=3
	s_add_u32 s18, s0, 8
	s_addc_u32 s19, s1, 0
	s_cmp_gt_u32 s22, 7
	s_cbranch_scc1 .LBB2_447
; %bb.444:                              ;   in Loop: Header=BB2_435 Depth=3
	s_cmp_eq_u32 s22, 0
	s_cbranch_scc1 .LBB2_448
; %bb.445:                              ;   in Loop: Header=BB2_435 Depth=3
	s_mov_b64 s[18:19], 0
	v_mov_b64_e32 v[6:7], 0
	s_mov_b64 s[20:21], 0
.LBB2_446:                              ;   Parent Loop BB2_13 Depth=1
                                        ;     Parent Loop BB2_228 Depth=2
                                        ;       Parent Loop BB2_435 Depth=3
                                        ; =>      This Inner Loop Header: Depth=4
	s_add_u32 s24, s0, s20
	s_addc_u32 s25, s1, s21
	global_load_ubyte v8, v47, s[24:25]
	s_add_u32 s20, s20, 1
	s_addc_u32 s21, s21, 0
	s_waitcnt vmcnt(0)
	v_and_b32_e32 v46, 0xffff, v8
	v_lshlrev_b64 v[8:9], s18, v[46:47]
	s_add_u32 s18, s18, 8
	s_addc_u32 s19, s19, 0
	v_or_b32_e32 v6, v8, v6
	s_cmp_lg_u32 s22, s20
	v_or_b32_e32 v7, v9, v7
	s_cbranch_scc1 .LBB2_446
	s_branch .LBB2_449
.LBB2_447:                              ;   in Loop: Header=BB2_435 Depth=3
                                        ; implicit-def: $vgpr6_vgpr7
	s_mov_b32 s23, 0
	s_branch .LBB2_450
.LBB2_448:                              ;   in Loop: Header=BB2_435 Depth=3
	v_mov_b64_e32 v[6:7], 0
.LBB2_449:                              ;   in Loop: Header=BB2_435 Depth=3
	s_mov_b64 s[18:19], s[0:1]
	s_mov_b32 s23, 0
	s_cbranch_execnz .LBB2_451
.LBB2_450:                              ;   in Loop: Header=BB2_435 Depth=3
	global_load_dwordx2 v[6:7], v47, s[0:1]
	s_add_i32 s23, s22, -8
.LBB2_451:                              ;   in Loop: Header=BB2_435 Depth=3
	s_add_u32 s0, s18, 8
	s_addc_u32 s1, s19, 0
	s_cmp_gt_u32 s23, 7
	s_cbranch_scc1 .LBB2_455
; %bb.452:                              ;   in Loop: Header=BB2_435 Depth=3
	s_cmp_eq_u32 s23, 0
	s_cbranch_scc1 .LBB2_456
; %bb.453:                              ;   in Loop: Header=BB2_435 Depth=3
	s_mov_b64 s[0:1], 0
	v_mov_b64_e32 v[8:9], 0
	s_mov_b64 s[20:21], 0
.LBB2_454:                              ;   Parent Loop BB2_13 Depth=1
                                        ;     Parent Loop BB2_228 Depth=2
                                        ;       Parent Loop BB2_435 Depth=3
                                        ; =>      This Inner Loop Header: Depth=4
	s_add_u32 s24, s18, s20
	s_addc_u32 s25, s19, s21
	global_load_ubyte v10, v47, s[24:25]
	s_add_u32 s20, s20, 1
	s_addc_u32 s21, s21, 0
	s_waitcnt vmcnt(0)
	v_and_b32_e32 v46, 0xffff, v10
	v_lshlrev_b64 v[10:11], s0, v[46:47]
	s_add_u32 s0, s0, 8
	s_addc_u32 s1, s1, 0
	v_or_b32_e32 v8, v10, v8
	s_cmp_lg_u32 s23, s20
	v_or_b32_e32 v9, v11, v9
	s_cbranch_scc1 .LBB2_454
	s_branch .LBB2_457
.LBB2_455:                              ;   in Loop: Header=BB2_435 Depth=3
	s_mov_b32 s22, 0
	s_branch .LBB2_458
.LBB2_456:                              ;   in Loop: Header=BB2_435 Depth=3
	v_mov_b64_e32 v[8:9], 0
.LBB2_457:                              ;   in Loop: Header=BB2_435 Depth=3
	s_mov_b64 s[0:1], s[18:19]
	s_mov_b32 s22, 0
	s_cbranch_execnz .LBB2_459
.LBB2_458:                              ;   in Loop: Header=BB2_435 Depth=3
	global_load_dwordx2 v[8:9], v47, s[18:19]
	s_add_i32 s22, s23, -8
.LBB2_459:                              ;   in Loop: Header=BB2_435 Depth=3
	s_add_u32 s18, s0, 8
	s_addc_u32 s19, s1, 0
	s_cmp_gt_u32 s22, 7
	s_cbranch_scc1 .LBB2_463
; %bb.460:                              ;   in Loop: Header=BB2_435 Depth=3
	s_cmp_eq_u32 s22, 0
	s_cbranch_scc1 .LBB2_464
; %bb.461:                              ;   in Loop: Header=BB2_435 Depth=3
	s_mov_b64 s[18:19], 0
	v_mov_b64_e32 v[10:11], 0
	s_mov_b64 s[20:21], 0
.LBB2_462:                              ;   Parent Loop BB2_13 Depth=1
                                        ;     Parent Loop BB2_228 Depth=2
                                        ;       Parent Loop BB2_435 Depth=3
                                        ; =>      This Inner Loop Header: Depth=4
	s_add_u32 s24, s0, s20
	s_addc_u32 s25, s1, s21
	global_load_ubyte v12, v47, s[24:25]
	s_add_u32 s20, s20, 1
	s_addc_u32 s21, s21, 0
	s_waitcnt vmcnt(0)
	v_and_b32_e32 v46, 0xffff, v12
	v_lshlrev_b64 v[12:13], s18, v[46:47]
	s_add_u32 s18, s18, 8
	s_addc_u32 s19, s19, 0
	v_or_b32_e32 v10, v12, v10
	s_cmp_lg_u32 s22, s20
	v_or_b32_e32 v11, v13, v11
	s_cbranch_scc1 .LBB2_462
	s_branch .LBB2_465
.LBB2_463:                              ;   in Loop: Header=BB2_435 Depth=3
                                        ; implicit-def: $vgpr10_vgpr11
	s_mov_b32 s23, 0
	s_branch .LBB2_466
.LBB2_464:                              ;   in Loop: Header=BB2_435 Depth=3
	v_mov_b64_e32 v[10:11], 0
.LBB2_465:                              ;   in Loop: Header=BB2_435 Depth=3
	s_mov_b64 s[18:19], s[0:1]
	s_mov_b32 s23, 0
	s_cbranch_execnz .LBB2_467
.LBB2_466:                              ;   in Loop: Header=BB2_435 Depth=3
	global_load_dwordx2 v[10:11], v47, s[0:1]
	s_add_i32 s23, s22, -8
.LBB2_467:                              ;   in Loop: Header=BB2_435 Depth=3
	s_add_u32 s0, s18, 8
	s_addc_u32 s1, s19, 0
	s_cmp_gt_u32 s23, 7
	s_cbranch_scc1 .LBB2_471
; %bb.468:                              ;   in Loop: Header=BB2_435 Depth=3
	s_cmp_eq_u32 s23, 0
	s_cbranch_scc1 .LBB2_472
; %bb.469:                              ;   in Loop: Header=BB2_435 Depth=3
	s_mov_b64 s[0:1], 0
	v_mov_b64_e32 v[12:13], 0
	s_mov_b64 s[20:21], 0
.LBB2_470:                              ;   Parent Loop BB2_13 Depth=1
                                        ;     Parent Loop BB2_228 Depth=2
                                        ;       Parent Loop BB2_435 Depth=3
                                        ; =>      This Inner Loop Header: Depth=4
	s_add_u32 s24, s18, s20
	s_addc_u32 s25, s19, s21
	global_load_ubyte v14, v47, s[24:25]
	s_add_u32 s20, s20, 1
	s_addc_u32 s21, s21, 0
	s_waitcnt vmcnt(0)
	v_and_b32_e32 v46, 0xffff, v14
	v_lshlrev_b64 v[14:15], s0, v[46:47]
	s_add_u32 s0, s0, 8
	s_addc_u32 s1, s1, 0
	v_or_b32_e32 v12, v14, v12
	s_cmp_lg_u32 s23, s20
	v_or_b32_e32 v13, v15, v13
	s_cbranch_scc1 .LBB2_470
	s_branch .LBB2_473
.LBB2_471:                              ;   in Loop: Header=BB2_435 Depth=3
	s_mov_b32 s22, 0
	s_branch .LBB2_474
.LBB2_472:                              ;   in Loop: Header=BB2_435 Depth=3
	v_mov_b64_e32 v[12:13], 0
.LBB2_473:                              ;   in Loop: Header=BB2_435 Depth=3
	s_mov_b64 s[0:1], s[18:19]
	s_mov_b32 s22, 0
	s_cbranch_execnz .LBB2_475
.LBB2_474:                              ;   in Loop: Header=BB2_435 Depth=3
	global_load_dwordx2 v[12:13], v47, s[18:19]
	s_add_i32 s22, s23, -8
.LBB2_475:                              ;   in Loop: Header=BB2_435 Depth=3
	s_add_u32 s18, s0, 8
	s_addc_u32 s19, s1, 0
	s_cmp_gt_u32 s22, 7
	s_cbranch_scc1 .LBB2_479
; %bb.476:                              ;   in Loop: Header=BB2_435 Depth=3
	s_cmp_eq_u32 s22, 0
	s_cbranch_scc1 .LBB2_480
; %bb.477:                              ;   in Loop: Header=BB2_435 Depth=3
	s_mov_b64 s[18:19], 0
	v_mov_b64_e32 v[14:15], 0
	s_mov_b64 s[20:21], 0
.LBB2_478:                              ;   Parent Loop BB2_13 Depth=1
                                        ;     Parent Loop BB2_228 Depth=2
                                        ;       Parent Loop BB2_435 Depth=3
                                        ; =>      This Inner Loop Header: Depth=4
	s_add_u32 s24, s0, s20
	s_addc_u32 s25, s1, s21
	global_load_ubyte v16, v47, s[24:25]
	s_add_u32 s20, s20, 1
	s_addc_u32 s21, s21, 0
	s_waitcnt vmcnt(0)
	v_and_b32_e32 v46, 0xffff, v16
	v_lshlrev_b64 v[16:17], s18, v[46:47]
	s_add_u32 s18, s18, 8
	s_addc_u32 s19, s19, 0
	v_or_b32_e32 v14, v16, v14
	s_cmp_lg_u32 s22, s20
	v_or_b32_e32 v15, v17, v15
	s_cbranch_scc1 .LBB2_478
	s_branch .LBB2_481
.LBB2_479:                              ;   in Loop: Header=BB2_435 Depth=3
                                        ; implicit-def: $vgpr14_vgpr15
	s_mov_b32 s23, 0
	s_branch .LBB2_482
.LBB2_480:                              ;   in Loop: Header=BB2_435 Depth=3
	v_mov_b64_e32 v[14:15], 0
.LBB2_481:                              ;   in Loop: Header=BB2_435 Depth=3
	s_mov_b64 s[18:19], s[0:1]
	s_mov_b32 s23, 0
	s_cbranch_execnz .LBB2_483
.LBB2_482:                              ;   in Loop: Header=BB2_435 Depth=3
	global_load_dwordx2 v[14:15], v47, s[0:1]
	s_add_i32 s23, s22, -8
.LBB2_483:                              ;   in Loop: Header=BB2_435 Depth=3
	s_cmp_gt_u32 s23, 7
	s_cbranch_scc1 .LBB2_487
; %bb.484:                              ;   in Loop: Header=BB2_435 Depth=3
	s_cmp_eq_u32 s23, 0
	s_cbranch_scc1 .LBB2_488
; %bb.485:                              ;   in Loop: Header=BB2_435 Depth=3
	s_mov_b64 s[0:1], 0
	v_mov_b64_e32 v[16:17], 0
	s_mov_b64 s[20:21], s[18:19]
.LBB2_486:                              ;   Parent Loop BB2_13 Depth=1
                                        ;     Parent Loop BB2_228 Depth=2
                                        ;       Parent Loop BB2_435 Depth=3
                                        ; =>      This Inner Loop Header: Depth=4
	global_load_ubyte v18, v47, s[20:21]
	s_add_i32 s23, s23, -1
	s_waitcnt vmcnt(0)
	v_and_b32_e32 v46, 0xffff, v18
	v_lshlrev_b64 v[18:19], s0, v[46:47]
	s_add_u32 s0, s0, 8
	s_addc_u32 s1, s1, 0
	s_add_u32 s20, s20, 1
	s_addc_u32 s21, s21, 0
	v_or_b32_e32 v16, v18, v16
	s_cmp_lg_u32 s23, 0
	v_or_b32_e32 v17, v19, v17
	s_cbranch_scc1 .LBB2_486
	s_branch .LBB2_489
.LBB2_487:                              ;   in Loop: Header=BB2_435 Depth=3
	s_branch .LBB2_490
.LBB2_488:                              ;   in Loop: Header=BB2_435 Depth=3
	v_mov_b64_e32 v[16:17], 0
.LBB2_489:                              ;   in Loop: Header=BB2_435 Depth=3
	s_cbranch_execnz .LBB2_491
.LBB2_490:                              ;   in Loop: Header=BB2_435 Depth=3
	global_load_dwordx2 v[16:17], v47, s[18:19]
.LBB2_491:                              ;   in Loop: Header=BB2_435 Depth=3
	v_readfirstlane_b32 s0, v105
	v_mov_b64_e32 v[26:27], 0
	s_nop 0
	v_cmp_eq_u32_e64 s[0:1], s0, v105
	s_and_saveexec_b64 s[18:19], s[0:1]
	s_cbranch_execz .LBB2_497
; %bb.492:                              ;   in Loop: Header=BB2_435 Depth=3
	global_load_dwordx2 v[20:21], v47, s[4:5] offset:24 sc0 sc1
	s_waitcnt vmcnt(0)
	buffer_inv sc0 sc1
	global_load_dwordx2 v[18:19], v47, s[4:5] offset:40
	global_load_dwordx2 v[26:27], v47, s[4:5]
	s_waitcnt vmcnt(1)
	v_and_b32_e32 v18, v18, v20
	v_and_b32_e32 v19, v19, v21
	v_mul_lo_u32 v19, v19, 24
	v_mul_hi_u32 v25, v18, 24
	v_add_u32_e32 v19, v25, v19
	v_mul_lo_u32 v18, v18, 24
	s_waitcnt vmcnt(0)
	v_lshl_add_u64 v[18:19], v[26:27], 0, v[18:19]
	global_load_dwordx2 v[18:19], v[18:19], off sc0 sc1
	s_waitcnt vmcnt(0)
	global_atomic_cmpswap_x2 v[26:27], v47, v[18:21], s[4:5] offset:24 sc0 sc1
	s_waitcnt vmcnt(0)
	buffer_inv sc0 sc1
	v_cmp_ne_u64_e32 vcc, v[26:27], v[20:21]
	s_and_saveexec_b64 s[20:21], vcc
	s_cbranch_execz .LBB2_496
; %bb.493:                              ;   in Loop: Header=BB2_435 Depth=3
	s_mov_b64 s[22:23], 0
.LBB2_494:                              ;   Parent Loop BB2_13 Depth=1
                                        ;     Parent Loop BB2_228 Depth=2
                                        ;       Parent Loop BB2_435 Depth=3
                                        ; =>      This Inner Loop Header: Depth=4
	s_sleep 1
	global_load_dwordx2 v[18:19], v47, s[4:5] offset:40
	global_load_dwordx2 v[30:31], v47, s[4:5]
	v_mov_b64_e32 v[20:21], v[26:27]
	s_waitcnt vmcnt(1)
	v_and_b32_e32 v18, v18, v20
	v_and_b32_e32 v25, v19, v21
	s_waitcnt vmcnt(0)
	v_mad_u64_u32 v[18:19], s[24:25], v18, 24, v[30:31]
	v_mov_b32_e32 v26, v19
	v_mad_u64_u32 v[26:27], s[24:25], v25, 24, v[26:27]
	v_mov_b32_e32 v19, v26
	global_load_dwordx2 v[18:19], v[18:19], off sc0 sc1
	s_waitcnt vmcnt(0)
	global_atomic_cmpswap_x2 v[26:27], v47, v[18:21], s[4:5] offset:24 sc0 sc1
	s_waitcnt vmcnt(0)
	buffer_inv sc0 sc1
	v_cmp_eq_u64_e32 vcc, v[26:27], v[20:21]
	s_or_b64 s[22:23], vcc, s[22:23]
	s_andn2_b64 exec, exec, s[22:23]
	s_cbranch_execnz .LBB2_494
; %bb.495:                              ;   in Loop: Header=BB2_435 Depth=3
	s_or_b64 exec, exec, s[22:23]
.LBB2_496:                              ;   in Loop: Header=BB2_435 Depth=3
	s_or_b64 exec, exec, s[20:21]
.LBB2_497:                              ;   in Loop: Header=BB2_435 Depth=3
	s_or_b64 exec, exec, s[18:19]
	global_load_dwordx2 v[30:31], v47, s[4:5] offset:40
	global_load_dwordx4 v[18:21], v47, s[4:5]
	v_readfirstlane_b32 s19, v27
	v_readfirstlane_b32 s18, v26
	s_mov_b64 s[20:21], exec
	s_waitcnt vmcnt(1)
	v_readfirstlane_b32 s22, v30
	v_readfirstlane_b32 s23, v31
	s_and_b64 s[22:23], s[22:23], s[18:19]
	s_mul_i32 s24, s23, 24
	s_mul_hi_u32 s25, s22, 24
	s_add_i32 s25, s25, s24
	s_mul_i32 s24, s22, 24
	s_waitcnt vmcnt(0)
	v_lshl_add_u64 v[26:27], v[18:19], 0, s[24:25]
	s_and_saveexec_b64 s[24:25], s[0:1]
	s_cbranch_execz .LBB2_499
; %bb.498:                              ;   in Loop: Header=BB2_435 Depth=3
	v_mov_b64_e32 v[56:57], s[20:21]
	global_store_dwordx4 v[26:27], v[56:59], off offset:8
.LBB2_499:                              ;   in Loop: Header=BB2_435 Depth=3
	s_or_b64 exec, exec, s[24:25]
	s_lshl_b64 s[20:21], s[22:23], 12
	v_lshl_add_u64 v[20:21], v[20:21], 0, s[20:21]
	v_cmp_gt_u64_e64 s[20:21], s[14:15], 56
	s_and_b64 s[20:21], s[20:21], exec
	s_cselect_b32 s20, 0, 2
	s_lshl_b32 s21, s16, 2
	s_add_i32 s21, s21, 28
	v_and_b32_e32 v0, 0xffffff1f, v0
	s_and_b32 s21, s21, 0x1e0
	v_or_b32_e32 v0, s20, v0
	v_or_b32_e32 v0, s21, v0
	v_readfirstlane_b32 s20, v20
	v_readfirstlane_b32 s21, v21
	s_nop 4
	global_store_dwordx4 v24, v[0:3], s[20:21]
	global_store_dwordx4 v24, v[6:9], s[20:21] offset:16
	global_store_dwordx4 v24, v[10:13], s[20:21] offset:32
	;; [unrolled: 1-line block ×3, first 2 shown]
	s_and_saveexec_b64 s[20:21], s[0:1]
	s_cbranch_execz .LBB2_507
; %bb.500:                              ;   in Loop: Header=BB2_435 Depth=3
	global_load_dwordx2 v[10:11], v47, s[4:5] offset:32 sc0 sc1
	global_load_dwordx2 v[0:1], v47, s[4:5] offset:40
	v_mov_b32_e32 v8, s18
	v_mov_b32_e32 v9, s19
	s_waitcnt vmcnt(0)
	v_readfirstlane_b32 s22, v0
	v_readfirstlane_b32 s23, v1
	s_and_b64 s[22:23], s[22:23], s[18:19]
	s_mul_i32 s23, s23, 24
	s_mul_hi_u32 s24, s22, 24
	s_mul_i32 s22, s22, 24
	s_add_i32 s23, s24, s23
	v_lshl_add_u64 v[6:7], v[18:19], 0, s[22:23]
	global_store_dwordx2 v[6:7], v[10:11], off
	buffer_wbl2 sc0 sc1
	s_waitcnt vmcnt(0)
	global_atomic_cmpswap_x2 v[2:3], v47, v[8:11], s[4:5] offset:32 sc0 sc1
	s_waitcnt vmcnt(0)
	v_cmp_ne_u64_e32 vcc, v[2:3], v[10:11]
	s_and_saveexec_b64 s[22:23], vcc
	s_cbranch_execz .LBB2_503
; %bb.501:                              ;   in Loop: Header=BB2_435 Depth=3
	s_mov_b64 s[24:25], 0
.LBB2_502:                              ;   Parent Loop BB2_13 Depth=1
                                        ;     Parent Loop BB2_228 Depth=2
                                        ;       Parent Loop BB2_435 Depth=3
                                        ; =>      This Inner Loop Header: Depth=4
	s_sleep 1
	global_store_dwordx2 v[6:7], v[2:3], off
	v_mov_b32_e32 v0, s18
	v_mov_b32_e32 v1, s19
	buffer_wbl2 sc0 sc1
	s_waitcnt vmcnt(0)
	global_atomic_cmpswap_x2 v[0:1], v47, v[0:3], s[4:5] offset:32 sc0 sc1
	s_waitcnt vmcnt(0)
	v_cmp_eq_u64_e32 vcc, v[0:1], v[2:3]
	s_or_b64 s[24:25], vcc, s[24:25]
	v_mov_b64_e32 v[2:3], v[0:1]
	s_andn2_b64 exec, exec, s[24:25]
	s_cbranch_execnz .LBB2_502
.LBB2_503:                              ;   in Loop: Header=BB2_435 Depth=3
	s_or_b64 exec, exec, s[22:23]
	global_load_dwordx2 v[0:1], v47, s[4:5] offset:16
	s_mov_b64 s[24:25], exec
	v_mbcnt_lo_u32_b32 v2, s24, 0
	v_mbcnt_hi_u32_b32 v2, s25, v2
	v_cmp_eq_u32_e32 vcc, 0, v2
	s_and_saveexec_b64 s[22:23], vcc
	s_cbranch_execz .LBB2_505
; %bb.504:                              ;   in Loop: Header=BB2_435 Depth=3
	s_bcnt1_i32_b64 s24, s[24:25]
	v_mov_b32_e32 v46, s24
	buffer_wbl2 sc0 sc1
	s_waitcnt vmcnt(0)
	global_atomic_add_x2 v[0:1], v[46:47], off offset:8 sc1
.LBB2_505:                              ;   in Loop: Header=BB2_435 Depth=3
	s_or_b64 exec, exec, s[22:23]
	s_waitcnt vmcnt(0)
	global_load_dwordx2 v[2:3], v[0:1], off offset:16
	s_waitcnt vmcnt(0)
	v_cmp_eq_u64_e32 vcc, 0, v[2:3]
	s_cbranch_vccnz .LBB2_507
; %bb.506:                              ;   in Loop: Header=BB2_435 Depth=3
	global_load_dword v46, v[0:1], off offset:24
	s_waitcnt vmcnt(0)
	v_readfirstlane_b32 s22, v46
	s_and_b32 m0, s22, 0xffffff
	buffer_wbl2 sc0 sc1
	global_store_dwordx2 v[2:3], v[46:47], off sc0 sc1
	s_sendmsg sendmsg(MSG_INTERRUPT)
.LBB2_507:                              ;   in Loop: Header=BB2_435 Depth=3
	s_or_b64 exec, exec, s[20:21]
	v_mov_b32_e32 v25, v47
	v_lshl_add_u64 v[0:1], v[20:21], 0, v[24:25]
	s_branch .LBB2_511
.LBB2_508:                              ;   in Loop: Header=BB2_511 Depth=4
	s_or_b64 exec, exec, s[20:21]
	v_readfirstlane_b32 s20, v2
	s_cmp_eq_u32 s20, 0
	s_cbranch_scc1 .LBB2_510
; %bb.509:                              ;   in Loop: Header=BB2_511 Depth=4
	s_sleep 1
	s_cbranch_execnz .LBB2_511
	s_branch .LBB2_513
.LBB2_510:                              ;   in Loop: Header=BB2_435 Depth=3
	s_branch .LBB2_513
.LBB2_511:                              ;   Parent Loop BB2_13 Depth=1
                                        ;     Parent Loop BB2_228 Depth=2
                                        ;       Parent Loop BB2_435 Depth=3
                                        ; =>      This Inner Loop Header: Depth=4
	v_mov_b32_e32 v2, 1
	s_and_saveexec_b64 s[20:21], s[0:1]
	s_cbranch_execz .LBB2_508
; %bb.512:                              ;   in Loop: Header=BB2_511 Depth=4
	global_load_dword v2, v[26:27], off offset:20 sc0 sc1
	s_waitcnt vmcnt(0)
	buffer_inv sc0 sc1
	v_and_b32_e32 v2, 1, v2
	s_branch .LBB2_508
.LBB2_513:                              ;   in Loop: Header=BB2_435 Depth=3
	global_load_dwordx4 v[0:3], v[0:1], off
	s_and_saveexec_b64 s[20:21], s[0:1]
	s_cbranch_execz .LBB2_434
; %bb.514:                              ;   in Loop: Header=BB2_435 Depth=3
	global_load_dwordx2 v[2:3], v47, s[4:5] offset:40
	global_load_dwordx2 v[10:11], v47, s[4:5] offset:24 sc0 sc1
	global_load_dwordx2 v[6:7], v47, s[4:5]
	s_waitcnt vmcnt(2)
	v_readfirstlane_b32 s22, v2
	v_readfirstlane_b32 s23, v3
	s_add_u32 s24, s22, 1
	s_addc_u32 s25, s23, 0
	s_add_u32 s0, s24, s18
	s_addc_u32 s1, s25, s19
	s_cmp_eq_u64 s[0:1], 0
	s_cselect_b32 s1, s25, s1
	s_cselect_b32 s0, s24, s0
	s_and_b64 s[18:19], s[0:1], s[22:23]
	s_mul_i32 s19, s19, 24
	s_mul_hi_u32 s22, s18, 24
	s_mul_i32 s18, s18, 24
	s_add_i32 s19, s22, s19
	s_waitcnt vmcnt(0)
	v_lshl_add_u64 v[2:3], v[6:7], 0, s[18:19]
	v_mov_b32_e32 v8, s0
	global_store_dwordx2 v[2:3], v[10:11], off
	v_mov_b32_e32 v9, s1
	buffer_wbl2 sc0 sc1
	s_waitcnt vmcnt(0)
	global_atomic_cmpswap_x2 v[8:9], v47, v[8:11], s[4:5] offset:24 sc0 sc1
	s_waitcnt vmcnt(0)
	v_cmp_ne_u64_e32 vcc, v[8:9], v[10:11]
	s_and_b64 exec, exec, vcc
	s_cbranch_execz .LBB2_434
; %bb.515:                              ;   in Loop: Header=BB2_435 Depth=3
	s_mov_b64 s[18:19], 0
.LBB2_516:                              ;   Parent Loop BB2_13 Depth=1
                                        ;     Parent Loop BB2_228 Depth=2
                                        ;       Parent Loop BB2_435 Depth=3
                                        ; =>      This Inner Loop Header: Depth=4
	s_sleep 1
	global_store_dwordx2 v[2:3], v[8:9], off
	v_mov_b32_e32 v6, s0
	v_mov_b32_e32 v7, s1
	buffer_wbl2 sc0 sc1
	s_waitcnt vmcnt(0)
	global_atomic_cmpswap_x2 v[6:7], v47, v[6:9], s[4:5] offset:24 sc0 sc1
	s_waitcnt vmcnt(0)
	v_cmp_eq_u64_e32 vcc, v[6:7], v[8:9]
	s_or_b64 s[18:19], vcc, s[18:19]
	v_mov_b64_e32 v[8:9], v[6:7]
	s_andn2_b64 exec, exec, s[18:19]
	s_cbranch_execnz .LBB2_516
	s_branch .LBB2_434
.LBB2_517:                              ;   in Loop: Header=BB2_228 Depth=2
	s_branch .LBB2_545
.LBB2_518:                              ;   in Loop: Header=BB2_228 Depth=2
	s_cbranch_execz .LBB2_545
; %bb.519:                              ;   in Loop: Header=BB2_228 Depth=2
	v_readfirstlane_b32 s0, v105
	v_mov_b64_e32 v[6:7], 0
	s_nop 0
	v_cmp_eq_u32_e64 s[0:1], s0, v105
	s_and_saveexec_b64 s[12:13], s[0:1]
	s_cbranch_execz .LBB2_525
; %bb.520:                              ;   in Loop: Header=BB2_228 Depth=2
	global_load_dwordx2 v[2:3], v47, s[4:5] offset:24 sc0 sc1
	s_waitcnt vmcnt(0)
	buffer_inv sc0 sc1
	global_load_dwordx2 v[0:1], v47, s[4:5] offset:40
	global_load_dwordx2 v[6:7], v47, s[4:5]
	s_waitcnt vmcnt(1)
	v_and_b32_e32 v0, v0, v2
	v_and_b32_e32 v1, v1, v3
	v_mul_lo_u32 v1, v1, 24
	v_mul_hi_u32 v8, v0, 24
	v_add_u32_e32 v1, v8, v1
	v_mul_lo_u32 v0, v0, 24
	s_waitcnt vmcnt(0)
	v_lshl_add_u64 v[0:1], v[6:7], 0, v[0:1]
	global_load_dwordx2 v[0:1], v[0:1], off sc0 sc1
	s_waitcnt vmcnt(0)
	global_atomic_cmpswap_x2 v[6:7], v47, v[0:3], s[4:5] offset:24 sc0 sc1
	s_waitcnt vmcnt(0)
	buffer_inv sc0 sc1
	v_cmp_ne_u64_e32 vcc, v[6:7], v[2:3]
	s_and_saveexec_b64 s[14:15], vcc
	s_cbranch_execz .LBB2_524
; %bb.521:                              ;   in Loop: Header=BB2_228 Depth=2
	s_mov_b64 s[16:17], 0
.LBB2_522:                              ;   Parent Loop BB2_13 Depth=1
                                        ;     Parent Loop BB2_228 Depth=2
                                        ; =>    This Inner Loop Header: Depth=3
	s_sleep 1
	global_load_dwordx2 v[0:1], v47, s[4:5] offset:40
	global_load_dwordx2 v[8:9], v47, s[4:5]
	v_mov_b64_e32 v[2:3], v[6:7]
	s_waitcnt vmcnt(1)
	v_and_b32_e32 v0, v0, v2
	v_and_b32_e32 v7, v1, v3
	s_waitcnt vmcnt(0)
	v_mad_u64_u32 v[0:1], s[18:19], v0, 24, v[8:9]
	v_mov_b32_e32 v6, v1
	v_mad_u64_u32 v[6:7], s[18:19], v7, 24, v[6:7]
	v_mov_b32_e32 v1, v6
	global_load_dwordx2 v[0:1], v[0:1], off sc0 sc1
	s_waitcnt vmcnt(0)
	global_atomic_cmpswap_x2 v[6:7], v47, v[0:3], s[4:5] offset:24 sc0 sc1
	s_waitcnt vmcnt(0)
	buffer_inv sc0 sc1
	v_cmp_eq_u64_e32 vcc, v[6:7], v[2:3]
	s_or_b64 s[16:17], vcc, s[16:17]
	s_andn2_b64 exec, exec, s[16:17]
	s_cbranch_execnz .LBB2_522
; %bb.523:                              ;   in Loop: Header=BB2_228 Depth=2
	s_or_b64 exec, exec, s[16:17]
.LBB2_524:                              ;   in Loop: Header=BB2_228 Depth=2
	s_or_b64 exec, exec, s[14:15]
.LBB2_525:                              ;   in Loop: Header=BB2_228 Depth=2
	s_or_b64 exec, exec, s[12:13]
	global_load_dwordx2 v[8:9], v47, s[4:5] offset:40
	global_load_dwordx4 v[0:3], v47, s[4:5]
	v_readfirstlane_b32 s13, v7
	v_readfirstlane_b32 s12, v6
	s_mov_b64 s[14:15], exec
	s_waitcnt vmcnt(1)
	v_readfirstlane_b32 s16, v8
	v_readfirstlane_b32 s17, v9
	s_and_b64 s[16:17], s[16:17], s[12:13]
	s_mul_i32 s18, s17, 24
	s_mul_hi_u32 s19, s16, 24
	s_add_i32 s19, s19, s18
	s_mul_i32 s18, s16, 24
	s_waitcnt vmcnt(0)
	v_lshl_add_u64 v[6:7], v[0:1], 0, s[18:19]
	s_and_saveexec_b64 s[18:19], s[0:1]
	s_cbranch_execz .LBB2_527
; %bb.526:                              ;   in Loop: Header=BB2_228 Depth=2
	v_mov_b64_e32 v[56:57], s[14:15]
	global_store_dwordx4 v[6:7], v[56:59], off offset:8
.LBB2_527:                              ;   in Loop: Header=BB2_228 Depth=2
	s_or_b64 exec, exec, s[18:19]
	s_lshl_b64 s[14:15], s[16:17], 12
	s_mov_b32 s57, s56
	v_lshl_add_u64 v[2:3], v[2:3], 0, s[14:15]
	s_mov_b32 s58, s56
	s_mov_b32 s59, s56
	v_mov_b64_e32 v[8:9], s[56:57]
	v_and_or_b32 v44, v44, s90, 34
	v_mov_b32_e32 v46, v47
	v_readfirstlane_b32 s14, v2
	v_readfirstlane_b32 s15, v3
	v_mov_b64_e32 v[10:11], s[58:59]
	s_nop 3
	global_store_dwordx4 v24, v[44:47], s[14:15]
	global_store_dwordx4 v24, v[8:11], s[14:15] offset:16
	global_store_dwordx4 v24, v[8:11], s[14:15] offset:32
	;; [unrolled: 1-line block ×3, first 2 shown]
	s_and_saveexec_b64 s[14:15], s[0:1]
	s_cbranch_execz .LBB2_535
; %bb.528:                              ;   in Loop: Header=BB2_228 Depth=2
	global_load_dwordx2 v[12:13], v47, s[4:5] offset:32 sc0 sc1
	global_load_dwordx2 v[2:3], v47, s[4:5] offset:40
	v_mov_b32_e32 v10, s12
	v_mov_b32_e32 v11, s13
	s_waitcnt vmcnt(0)
	v_readfirstlane_b32 s16, v2
	v_readfirstlane_b32 s17, v3
	s_and_b64 s[16:17], s[16:17], s[12:13]
	s_mul_i32 s17, s17, 24
	s_mul_hi_u32 s18, s16, 24
	s_mul_i32 s16, s16, 24
	s_add_i32 s17, s18, s17
	v_lshl_add_u64 v[8:9], v[0:1], 0, s[16:17]
	global_store_dwordx2 v[8:9], v[12:13], off
	buffer_wbl2 sc0 sc1
	s_waitcnt vmcnt(0)
	global_atomic_cmpswap_x2 v[2:3], v47, v[10:13], s[4:5] offset:32 sc0 sc1
	s_waitcnt vmcnt(0)
	v_cmp_ne_u64_e32 vcc, v[2:3], v[12:13]
	s_and_saveexec_b64 s[16:17], vcc
	s_cbranch_execz .LBB2_531
; %bb.529:                              ;   in Loop: Header=BB2_228 Depth=2
	s_mov_b64 s[18:19], 0
.LBB2_530:                              ;   Parent Loop BB2_13 Depth=1
                                        ;     Parent Loop BB2_228 Depth=2
                                        ; =>    This Inner Loop Header: Depth=3
	s_sleep 1
	global_store_dwordx2 v[8:9], v[2:3], off
	v_mov_b32_e32 v0, s12
	v_mov_b32_e32 v1, s13
	buffer_wbl2 sc0 sc1
	s_waitcnt vmcnt(0)
	global_atomic_cmpswap_x2 v[0:1], v47, v[0:3], s[4:5] offset:32 sc0 sc1
	s_waitcnt vmcnt(0)
	v_cmp_eq_u64_e32 vcc, v[0:1], v[2:3]
	s_or_b64 s[18:19], vcc, s[18:19]
	v_mov_b64_e32 v[2:3], v[0:1]
	s_andn2_b64 exec, exec, s[18:19]
	s_cbranch_execnz .LBB2_530
.LBB2_531:                              ;   in Loop: Header=BB2_228 Depth=2
	s_or_b64 exec, exec, s[16:17]
	global_load_dwordx2 v[0:1], v47, s[4:5] offset:16
	s_mov_b64 s[18:19], exec
	v_mbcnt_lo_u32_b32 v2, s18, 0
	v_mbcnt_hi_u32_b32 v2, s19, v2
	v_cmp_eq_u32_e32 vcc, 0, v2
	s_and_saveexec_b64 s[16:17], vcc
	s_cbranch_execz .LBB2_533
; %bb.532:                              ;   in Loop: Header=BB2_228 Depth=2
	s_bcnt1_i32_b64 s18, s[18:19]
	v_mov_b32_e32 v46, s18
	buffer_wbl2 sc0 sc1
	s_waitcnt vmcnt(0)
	global_atomic_add_x2 v[0:1], v[46:47], off offset:8 sc1
.LBB2_533:                              ;   in Loop: Header=BB2_228 Depth=2
	s_or_b64 exec, exec, s[16:17]
	s_waitcnt vmcnt(0)
	global_load_dwordx2 v[2:3], v[0:1], off offset:16
	s_waitcnt vmcnt(0)
	v_cmp_eq_u64_e32 vcc, 0, v[2:3]
	s_cbranch_vccnz .LBB2_535
; %bb.534:                              ;   in Loop: Header=BB2_228 Depth=2
	global_load_dword v46, v[0:1], off offset:24
	s_waitcnt vmcnt(0)
	v_readfirstlane_b32 s16, v46
	s_and_b32 m0, s16, 0xffffff
	buffer_wbl2 sc0 sc1
	global_store_dwordx2 v[2:3], v[46:47], off sc0 sc1
	s_sendmsg sendmsg(MSG_INTERRUPT)
.LBB2_535:                              ;   in Loop: Header=BB2_228 Depth=2
	s_or_b64 exec, exec, s[14:15]
	s_branch .LBB2_539
.LBB2_536:                              ;   in Loop: Header=BB2_539 Depth=3
	s_or_b64 exec, exec, s[14:15]
	v_readfirstlane_b32 s14, v0
	s_cmp_eq_u32 s14, 0
	s_cbranch_scc1 .LBB2_538
; %bb.537:                              ;   in Loop: Header=BB2_539 Depth=3
	s_sleep 1
	s_cbranch_execnz .LBB2_539
	s_branch .LBB2_541
.LBB2_538:                              ;   in Loop: Header=BB2_228 Depth=2
	s_branch .LBB2_541
.LBB2_539:                              ;   Parent Loop BB2_13 Depth=1
                                        ;     Parent Loop BB2_228 Depth=2
                                        ; =>    This Inner Loop Header: Depth=3
	v_mov_b32_e32 v0, 1
	s_and_saveexec_b64 s[14:15], s[0:1]
	s_cbranch_execz .LBB2_536
; %bb.540:                              ;   in Loop: Header=BB2_539 Depth=3
	global_load_dword v0, v[6:7], off offset:20 sc0 sc1
	s_waitcnt vmcnt(0)
	buffer_inv sc0 sc1
	v_and_b32_e32 v0, 1, v0
	s_branch .LBB2_536
.LBB2_541:                              ;   in Loop: Header=BB2_228 Depth=2
	s_and_b64 exec, exec, s[0:1]
	s_cbranch_execz .LBB2_545
; %bb.542:                              ;   in Loop: Header=BB2_228 Depth=2
	global_load_dwordx2 v[0:1], v47, s[4:5] offset:40
	global_load_dwordx2 v[10:11], v47, s[4:5] offset:24 sc0 sc1
	global_load_dwordx2 v[2:3], v47, s[4:5]
	s_waitcnt vmcnt(2)
	v_readfirstlane_b32 s14, v0
	v_readfirstlane_b32 s15, v1
	s_add_u32 s16, s14, 1
	s_addc_u32 s17, s15, 0
	s_add_u32 s0, s16, s12
	s_addc_u32 s1, s17, s13
	s_cmp_eq_u64 s[0:1], 0
	s_cselect_b32 s1, s17, s1
	s_cselect_b32 s0, s16, s0
	s_and_b64 s[12:13], s[0:1], s[14:15]
	s_mul_i32 s13, s13, 24
	s_mul_hi_u32 s14, s12, 24
	s_mul_i32 s12, s12, 24
	s_add_i32 s13, s14, s13
	s_waitcnt vmcnt(0)
	v_lshl_add_u64 v[6:7], v[2:3], 0, s[12:13]
	v_mov_b32_e32 v8, s0
	global_store_dwordx2 v[6:7], v[10:11], off
	v_mov_b32_e32 v9, s1
	buffer_wbl2 sc0 sc1
	s_waitcnt vmcnt(0)
	global_atomic_cmpswap_x2 v[2:3], v47, v[8:11], s[4:5] offset:24 sc0 sc1
	s_waitcnt vmcnt(0)
	v_cmp_ne_u64_e32 vcc, v[2:3], v[10:11]
	s_and_b64 exec, exec, vcc
	s_cbranch_execz .LBB2_545
; %bb.543:                              ;   in Loop: Header=BB2_228 Depth=2
	s_mov_b64 s[12:13], 0
.LBB2_544:                              ;   Parent Loop BB2_13 Depth=1
                                        ;     Parent Loop BB2_228 Depth=2
                                        ; =>    This Inner Loop Header: Depth=3
	s_sleep 1
	global_store_dwordx2 v[6:7], v[2:3], off
	v_mov_b32_e32 v0, s0
	v_mov_b32_e32 v1, s1
	buffer_wbl2 sc0 sc1
	s_waitcnt vmcnt(0)
	global_atomic_cmpswap_x2 v[0:1], v47, v[0:3], s[4:5] offset:24 sc0 sc1
	s_waitcnt vmcnt(0)
	v_cmp_eq_u64_e32 vcc, v[0:1], v[2:3]
	s_or_b64 s[12:13], vcc, s[12:13]
	v_mov_b64_e32 v[2:3], v[0:1]
	s_andn2_b64 exec, exec, s[12:13]
	s_cbranch_execnz .LBB2_544
.LBB2_545:                              ;   in Loop: Header=BB2_228 Depth=2
	s_or_b64 exec, exec, s[2:3]
	scratch_load_ubyte v0, off, off
	s_waitcnt vmcnt(0)
	v_mov_b32_e32 v2, 0x58
	v_cmp_lt_i32_e32 vcc, 0, v29
	global_store_byte v[22:23], v2, off offset:48
	global_store_dword v[22:23], v47, off offset:52
	s_and_saveexec_b64 s[12:13], vcc
	s_cbranch_execz .LBB2_551
; %bb.546:                              ;   in Loop: Header=BB2_228 Depth=2
	v_cmp_lt_u32_e32 vcc, 3, v29
	s_mov_b64 s[0:1], 0
                                        ; implicit-def: $vgpr1
	s_and_saveexec_b64 s[2:3], vcc
	s_xor_b64 s[14:15], exec, s[2:3]
	s_cbranch_execnz .LBB2_559
; %bb.547:                              ;   in Loop: Header=BB2_228 Depth=2
	s_andn2_saveexec_b64 s[2:3], s[14:15]
	s_cbranch_execnz .LBB2_578
.LBB2_548:                              ;   in Loop: Header=BB2_228 Depth=2
	s_or_b64 exec, exec, s[2:3]
	v_mov_b32_e32 v2, 0x58
	s_and_saveexec_b64 s[2:3], s[0:1]
	s_cbranch_execz .LBB2_550
.LBB2_549:                              ;   in Loop: Header=BB2_228 Depth=2
	s_waitcnt vmcnt(0)
	v_mov_b32_e32 v2, v1
	global_store_byte v[22:23], v1, off offset:48
.LBB2_550:                              ;   in Loop: Header=BB2_228 Depth=2
	s_or_b64 exec, exec, s[2:3]
.LBB2_551:                              ;   in Loop: Header=BB2_228 Depth=2
	s_or_b64 exec, exec, s[12:13]
	v_cmp_eq_u16_sdwa s[0:1], v0, v2 src0_sel:BYTE_0 src1_sel:BYTE_0
	v_cmp_ne_u16_sdwa s[4:5], v0, v2 src0_sel:BYTE_0 src1_sel:BYTE_0
	v_mov_b32_e32 v0, 0
	s_and_saveexec_b64 s[2:3], s[4:5]
	s_cbranch_execz .LBB2_557
; %bb.552:                              ;   in Loop: Header=BB2_228 Depth=2
	scratch_load_ubyte v0, off, off offset:16
	s_waitcnt vmcnt(0)
	v_cmp_eq_u16_sdwa s[4:5], v0, v2 src0_sel:DWORD src1_sel:BYTE_0
	v_cmp_ne_u16_sdwa s[14:15], v0, v2 src0_sel:DWORD src1_sel:BYTE_0
	v_mov_b32_e32 v0, s41
	s_and_saveexec_b64 s[12:13], s[14:15]
	s_cbranch_execz .LBB2_556
; %bb.553:                              ;   in Loop: Header=BB2_228 Depth=2
	scratch_load_ubyte v0, off, off offset:32
	s_waitcnt vmcnt(0)
	v_cmp_eq_u16_sdwa s[14:15], v0, v2 src0_sel:DWORD src1_sel:BYTE_0
	v_cmp_ne_u16_sdwa s[18:19], v0, v2 src0_sel:DWORD src1_sel:BYTE_0
	v_mov_b32_e32 v0, s88
	s_and_saveexec_b64 s[16:17], s[18:19]
	s_cbranch_execz .LBB2_555
; %bb.554:                              ;   in Loop: Header=BB2_228 Depth=2
	scratch_load_ubyte v1, off, off offset:48
	s_andn2_b64 s[14:15], s[14:15], exec
	v_mov_b32_e32 v0, s89
	s_waitcnt vmcnt(0)
	v_cmp_eq_u16_sdwa s[18:19], v1, v2 src0_sel:DWORD src1_sel:BYTE_0
	s_and_b64 s[18:19], s[18:19], exec
	s_or_b64 s[14:15], s[14:15], s[18:19]
.LBB2_555:                              ;   in Loop: Header=BB2_228 Depth=2
	s_or_b64 exec, exec, s[16:17]
	s_andn2_b64 s[4:5], s[4:5], exec
	s_and_b64 s[14:15], s[14:15], exec
	s_or_b64 s[4:5], s[4:5], s[14:15]
.LBB2_556:                              ;   in Loop: Header=BB2_228 Depth=2
	s_or_b64 exec, exec, s[12:13]
	s_andn2_b64 s[0:1], s[0:1], exec
	s_and_b64 s[4:5], s[4:5], exec
	s_or_b64 s[0:1], s[0:1], s[4:5]
.LBB2_557:                              ;   in Loop: Header=BB2_228 Depth=2
	s_or_b64 exec, exec, s[2:3]
	s_and_b64 exec, exec, s[0:1]
	s_cbranch_execz .LBB2_227
; %bb.558:                              ;   in Loop: Header=BB2_228 Depth=2
	scratch_load_dword v0, v0, off offset:8
	s_waitcnt vmcnt(0)
	global_store_dword v[22:23], v0, off offset:52
	s_branch .LBB2_227
.LBB2_559:                              ;   in Loop: Header=BB2_228 Depth=2
	v_cmp_lt_u32_e32 vcc, 5, v29
                                        ; implicit-def: $vgpr1
	s_and_saveexec_b64 s[2:3], vcc
	s_xor_b64 s[16:17], exec, s[2:3]
	s_cbranch_execz .LBB2_575
; %bb.560:                              ;   in Loop: Header=BB2_228 Depth=2
	v_cmp_ne_u32_e32 vcc, 6, v29
                                        ; implicit-def: $vgpr1
	s_and_saveexec_b64 s[2:3], vcc
	s_xor_b64 s[18:19], exec, s[2:3]
	s_cbranch_execz .LBB2_572
; %bb.561:                              ;   in Loop: Header=BB2_228 Depth=2
	v_cmp_gt_i32_e32 vcc, 7, v28
	v_cmp_lt_i32_e64 s[0:1], 6, v28
	v_mov_b32_e32 v1, v0
	s_and_saveexec_b64 s[20:21], s[0:1]
	s_cbranch_execz .LBB2_571
; %bb.562:                              ;   in Loop: Header=BB2_228 Depth=2
	scratch_load_dword v1, off, off offset:44
	s_waitcnt vmcnt(0)
	v_cmp_eq_u32_e64 s[0:1], 7, v1
	v_cmp_ne_u32_e64 s[2:3], 7, v1
	v_mov_b32_e32 v1, 0x46
	s_and_saveexec_b64 s[22:23], s[2:3]
	s_cbranch_execz .LBB2_570
; %bb.563:                              ;   in Loop: Header=BB2_228 Depth=2
	scratch_load_dword v2, off, off offset:8
	scratch_load_dword v3, off, off offset:24
	v_mov_b32_e32 v1, 0x46
	s_waitcnt vmcnt(0)
	v_cmp_eq_u32_e64 s[2:3], v2, v3
	v_cmp_ne_u32_e64 s[4:5], v2, v3
	s_and_saveexec_b64 s[24:25], s[4:5]
	s_cbranch_execz .LBB2_569
; %bb.564:                              ;   in Loop: Header=BB2_228 Depth=2
	v_cmp_le_u32_e64 s[4:5], v2, v3
	s_mov_b64 s[28:29], -1
	v_mov_b32_e32 v1, v0
	s_and_saveexec_b64 s[26:27], s[4:5]
	s_cbranch_execz .LBB2_568
; %bb.565:                              ;   in Loop: Header=BB2_228 Depth=2
	v_cmp_gt_u32_e64 s[4:5], v3, v2
	s_mov_b64 s[28:29], 0
	v_mov_b32_e32 v1, v0
	s_and_saveexec_b64 s[30:31], s[4:5]
	s_xor_b64 s[4:5], exec, s[30:31]
	s_cbranch_execz .LBB2_567
; %bb.566:                              ;   in Loop: Header=BB2_228 Depth=2
	scratch_load_ubyte v1, off, off offset:16
	s_mov_b64 s[28:29], exec
.LBB2_567:                              ;   in Loop: Header=BB2_228 Depth=2
	s_or_b64 exec, exec, s[4:5]
	s_orn2_b64 s[28:29], s[28:29], exec
.LBB2_568:                              ;   in Loop: Header=BB2_228 Depth=2
	s_or_b64 exec, exec, s[26:27]
	s_andn2_b64 s[2:3], s[2:3], exec
	s_and_b64 s[4:5], s[28:29], exec
	s_or_b64 s[2:3], s[2:3], s[4:5]
.LBB2_569:                              ;   in Loop: Header=BB2_228 Depth=2
	s_or_b64 exec, exec, s[24:25]
	s_andn2_b64 s[0:1], s[0:1], exec
	s_and_b64 s[2:3], s[2:3], exec
	s_or_b64 s[0:1], s[0:1], s[2:3]
.LBB2_570:                              ;   in Loop: Header=BB2_228 Depth=2
	s_or_b64 exec, exec, s[22:23]
	s_andn2_b64 s[2:3], vcc, exec
	s_and_b64 s[0:1], s[0:1], exec
	s_or_b64 vcc, s[2:3], s[0:1]
.LBB2_571:                              ;   in Loop: Header=BB2_228 Depth=2
	s_or_b64 exec, exec, s[20:21]
	s_and_b64 s[0:1], vcc, exec
                                        ; implicit-def: $vgpr28
.LBB2_572:                              ;   in Loop: Header=BB2_228 Depth=2
	s_andn2_saveexec_b64 s[2:3], s[18:19]
	s_cbranch_execz .LBB2_574
; %bb.573:                              ;   in Loop: Header=BB2_228 Depth=2
	v_cmp_gt_i32_e32 vcc, 4, v28
	s_andn2_b64 s[0:1], s[0:1], exec
	s_and_b64 s[4:5], vcc, exec
	s_or_b64 s[0:1], s[0:1], s[4:5]
	s_waitcnt vmcnt(0)
	v_mov_b32_e32 v1, v0
.LBB2_574:                              ;   in Loop: Header=BB2_228 Depth=2
	s_or_b64 exec, exec, s[2:3]
	s_and_b64 s[0:1], s[0:1], exec
                                        ; implicit-def: $vgpr28
.LBB2_575:                              ;   in Loop: Header=BB2_228 Depth=2
	s_andn2_saveexec_b64 s[2:3], s[16:17]
	s_cbranch_execz .LBB2_577
; %bb.576:                              ;   in Loop: Header=BB2_228 Depth=2
	v_cmp_gt_i32_e32 vcc, 3, v28
	s_andn2_b64 s[0:1], s[0:1], exec
	s_and_b64 s[4:5], vcc, exec
	s_or_b64 s[0:1], s[0:1], s[4:5]
	s_waitcnt vmcnt(0)
	v_mov_b32_e32 v1, v0
.LBB2_577:                              ;   in Loop: Header=BB2_228 Depth=2
	s_or_b64 exec, exec, s[2:3]
	s_and_b64 s[0:1], s[0:1], exec
                                        ; implicit-def: $vgpr28
	s_andn2_saveexec_b64 s[2:3], s[14:15]
	s_cbranch_execz .LBB2_548
.LBB2_578:                              ;   in Loop: Header=BB2_228 Depth=2
	v_cmp_eq_u32_e32 vcc, 0, v28
	s_andn2_b64 s[0:1], s[0:1], exec
	s_and_b64 s[4:5], vcc, exec
	s_or_b64 s[0:1], s[0:1], s[4:5]
	s_waitcnt vmcnt(0)
	v_mov_b32_e32 v1, v0
	s_or_b64 exec, exec, s[2:3]
	v_mov_b32_e32 v2, 0x58
	s_and_saveexec_b64 s[2:3], s[0:1]
	s_cbranch_execnz .LBB2_549
	s_branch .LBB2_550
.LBB2_579:                              ;   in Loop: Header=BB2_13 Depth=1
	s_or_b64 exec, exec, s[6:7]
	s_and_saveexec_b64 s[0:1], s[44:45]
	s_cbranch_execz .LBB2_582
; %bb.580:                              ;   in Loop: Header=BB2_13 Depth=1
	s_mov_b64 s[2:3], 0
	v_mov_b32_e32 v46, v89
	s_waitcnt vmcnt(0)
	v_mov_b64_e32 v[0:1], v[78:79]
.LBB2_581:                              ;   Parent Loop BB2_13 Depth=1
                                        ; =>  This Inner Loop Header: Depth=2
	v_mad_u64_u32 v[2:3], s[4:5], v0, 24, v[70:71]
	v_mov_b32_e32 v0, v3
	v_cmp_le_u64_e32 vcc, s[62:63], v[46:47]
	v_mad_u64_u32 v[6:7], s[4:5], v1, 24, v[0:1]
	s_or_b64 s[2:3], vcc, s[2:3]
	v_mov_b64_e32 v[0:1], v[46:47]
	v_add_u32_e32 v46, 64, v46
	v_mov_b32_e32 v3, v6
	global_store_dword v[2:3], v104, off offset:8
	s_andn2_b64 exec, exec, s[2:3]
	s_cbranch_execnz .LBB2_581
.LBB2_582:                              ;   in Loop: Header=BB2_13 Depth=1
	s_or_b64 exec, exec, s[0:1]
	s_mov_b64 s[4:5], -1
	s_mov_b64 s[0:1], -1
	s_and_saveexec_b64 s[6:7], s[46:47]
	s_cbranch_execz .LBB2_723
; %bb.583:                              ;   in Loop: Header=BB2_13 Depth=1
	v_sub_u32_e32 v0, v43, v4
	s_waitcnt vmcnt(0)
	v_ashrrev_i32_e32 v1, 31, v0
	v_lshl_add_u64 v[0:1], v[74:75], 0, v[0:1]
	v_max_i32_e32 v2, 1, v4
	s_mov_b64 s[0:1], 0
	s_mov_b64 s[2:3], 0
.LBB2_584:                              ;   Parent Loop BB2_13 Depth=1
                                        ; =>  This Inner Loop Header: Depth=2
	v_lshl_add_u64 v[6:7], v[0:1], 0, s[2:3]
	global_load_ubyte v3, v[6:7], off
	v_lshl_add_u64 v[6:7], v[76:77], 0, s[2:3]
	s_add_u32 s2, s2, 1
	s_addc_u32 s3, s3, 0
	v_cmp_eq_u32_e32 vcc, s2, v2
	s_or_b64 s[0:1], vcc, s[0:1]
	s_waitcnt vmcnt(0)
	global_store_byte v[6:7], v3, off
	s_andn2_b64 exec, exec, s[0:1]
	s_cbranch_execnz .LBB2_584
; %bb.585:                              ;   in Loop: Header=BB2_13 Depth=1
	s_or_b64 exec, exec, s[0:1]
	v_mov_b32_e32 v0, v4
	s_andn2_b64 vcc, exec, s[74:75]
	v_mov_b32_e32 v1, v47
	s_cbranch_vccnz .LBB2_709
; %bb.586:                              ;   in Loop: Header=BB2_13 Depth=1
	v_xor_b32_e32 v10, 0x3fb0bb5f, v4
	v_add_u32_e32 v11, 4, v4
	v_mov_b32_e32 v12, 0x58
	v_mov_b32_e32 v5, 0
	s_mov_b64 s[8:9], 0
	s_mov_b32 s28, 0
	v_mov_b64_e32 v[2:3], v[76:77]
	s_branch .LBB2_591
.LBB2_587:                              ;   in Loop: Header=BB2_591 Depth=2
	s_or_b64 exec, exec, s[18:19]
	s_and_b64 s[0:1], vcc, s[0:1]
	s_and_b64 s[2:3], s[0:1], exec
.LBB2_588:                              ;   in Loop: Header=BB2_591 Depth=2
	s_or_b64 exec, exec, s[14:15]
	s_and_b64 s[0:1], s[2:3], exec
.LBB2_589:                              ;   in Loop: Header=BB2_591 Depth=2
	s_or_b64 exec, exec, s[12:13]
	s_and_b64 s[0:1], s[0:1], exec
.LBB2_590:                              ;   in Loop: Header=BB2_591 Depth=2
	s_or_b64 exec, exec, s[10:11]
	s_add_i32 s28, s28, 1
	s_cmp_eq_u32 s28, s62
	s_cselect_b64 s[2:3], -1, 0
	s_xor_b64 s[0:1], s[0:1], -1
	s_or_b64 s[0:1], s[0:1], s[2:3]
	s_and_b64 s[0:1], exec, s[0:1]
	s_or_b64 s[8:9], s[0:1], s[8:9]
	v_mov_b32_e32 v12, v15
	s_andn2_b64 exec, exec, s[8:9]
	s_cbranch_execz .LBB2_708
.LBB2_591:                              ;   Parent Loop BB2_13 Depth=1
                                        ; =>  This Loop Header: Depth=2
                                        ;       Child Loop BB2_597 Depth 3
                                        ;       Child Loop BB2_616 Depth 3
	;; [unrolled: 1-line block ×3, first 2 shown]
                                        ;         Child Loop BB2_627 Depth 4
                                        ;       Child Loop BB2_641 Depth 3
                                        ;       Child Loop BB2_660 Depth 3
	;; [unrolled: 1-line block ×3, first 2 shown]
                                        ;         Child Loop BB2_671 Depth 4
	v_and_b32_e32 v46, 3, v2
	v_cmp_ne_u32_e32 vcc, 0, v46
                                        ; implicit-def: $vgpr16
	s_and_saveexec_b64 s[0:1], vcc
	s_xor_b64 s[2:3], exec, s[0:1]
	s_cbranch_execz .LBB2_614
; %bb.592:                              ;   in Loop: Header=BB2_591 Depth=2
	v_cmp_gt_i32_e64 s[0:1], 3, v46
	v_mov_b32_e32 v8, 0
	s_and_saveexec_b64 s[10:11], s[0:1]
	s_cbranch_execz .LBB2_596
; %bb.593:                              ;   in Loop: Header=BB2_591 Depth=2
	v_cmp_ne_u32_e64 s[0:1], 2, v46
	v_mov_b32_e32 v6, 0
	s_and_saveexec_b64 s[12:13], s[0:1]
	s_cbranch_execz .LBB2_595
; %bb.594:                              ;   in Loop: Header=BB2_591 Depth=2
	global_load_ubyte v6, v[2:3], off offset:2
	s_waitcnt vmcnt(0)
	v_lshlrev_b32_e32 v6, 16, v6
.LBB2_595:                              ;   in Loop: Header=BB2_591 Depth=2
	s_or_b64 exec, exec, s[12:13]
	global_load_ubyte v7, v[2:3], off offset:1
	s_waitcnt vmcnt(0)
	v_lshl_or_b32 v8, v7, 8, v6
.LBB2_596:                              ;   in Loop: Header=BB2_591 Depth=2
	s_or_b64 exec, exec, s[10:11]
	global_load_ubyte v9, v[2:3], off
	v_lshlrev_b32_e32 v18, 3, v46
	v_sub_u32_e32 v16, 4, v46
	v_mov_b32_e32 v17, v47
	v_add_u32_e32 v15, v4, v46
	s_mov_b64 s[10:11], 0
	v_lshl_add_u64 v[6:7], v[2:3], 0, v[16:17]
	v_lshlrev_b32_e32 v17, 3, v16
	v_mov_b32_e32 v14, v10
	s_waitcnt vmcnt(0)
	v_or_b32_e32 v8, v8, v9
	v_lshlrev_b32_e32 v8, v18, v8
.LBB2_597:                              ;   Parent Loop BB2_13 Depth=1
                                        ;     Parent Loop BB2_591 Depth=2
                                        ; =>    This Inner Loop Header: Depth=3
	global_load_dword v13, v[6:7], off
	v_lshrrev_b32_e32 v8, v18, v8
	v_mul_lo_u32 v9, v14, s99
	v_add_u32_e32 v15, -4, v15
	v_cmp_gt_u32_e64 s[0:1], 8, v15
	v_lshl_add_u64 v[6:7], v[6:7], 0, 4
	s_or_b64 s[10:11], s[0:1], s[10:11]
	s_waitcnt vmcnt(0)
	v_lshl_or_b32 v14, v13, v17, v8
	v_mul_lo_u32 v14, v14, s99
	v_xor_b32_sdwa v14, v14, v14 dst_sel:DWORD dst_unused:UNUSED_PAD src0_sel:BYTE_3 src1_sel:DWORD
	v_mul_lo_u32 v14, v14, s99
	v_mov_b32_e32 v8, v13
	v_xor_b32_e32 v14, v14, v9
	s_andn2_b64 exec, exec, s[10:11]
	s_cbranch_execnz .LBB2_597
; %bb.598:                              ;   in Loop: Header=BB2_591 Depth=2
	s_or_b64 exec, exec, s[10:11]
	v_add_u32_e32 v19, -4, v15
	v_lshl_add_u64 v[8:9], v[6:7], 0, -4
	v_cmp_ge_u32_e64 s[0:1], v19, v46
                                        ; implicit-def: $vgpr16
	s_and_saveexec_b64 s[10:11], s[0:1]
	s_xor_b64 s[10:11], exec, s[10:11]
	s_cbranch_execz .LBB2_608
; %bb.599:                              ;   in Loop: Header=BB2_591 Depth=2
	v_cmp_lt_i32_e64 s[0:1], 2, v46
	s_mov_b64 s[12:13], 0
                                        ; implicit-def: $vgpr16
	s_and_saveexec_b64 s[14:15], s[0:1]
	s_xor_b64 s[0:1], exec, s[14:15]
	s_cbranch_execnz .LBB2_686
; %bb.600:                              ;   in Loop: Header=BB2_591 Depth=2
	s_andn2_saveexec_b64 s[14:15], s[0:1]
	s_cbranch_execnz .LBB2_687
.LBB2_601:                              ;   in Loop: Header=BB2_591 Depth=2
	s_or_b64 exec, exec, s[14:15]
	v_mov_b32_e32 v20, 0
	s_and_saveexec_b64 s[0:1], s[12:13]
	s_cbranch_execz .LBB2_603
.LBB2_602:                              ;   in Loop: Header=BB2_591 Depth=2
	global_load_ubyte v20, v[8:9], off offset:5
	s_waitcnt vmcnt(0)
	v_lshl_or_b32 v20, v20, 8, v16
.LBB2_603:                              ;   in Loop: Header=BB2_591 Depth=2
	s_or_b64 exec, exec, s[0:1]
	global_load_ubyte v16, v[6:7], off
	v_lshrrev_b32_e32 v21, v18, v13
	v_mul_lo_u32 v22, v14, s99
	v_sub_u32_e32 v18, v19, v46
	v_lshl_add_u64 v[8:9], v[8:9], 0, v[46:47]
	v_cmp_lt_i32_e64 s[0:1], 1, v18
	s_mov_b64 s[12:13], 0
	s_waitcnt vmcnt(0)
	v_or_b32_e32 v16, v20, v16
	v_lshl_or_b32 v16, v16, v17, v21
	v_mul_lo_u32 v16, v16, s99
	v_xor_b32_sdwa v16, v16, v16 dst_sel:DWORD dst_unused:UNUSED_PAD src0_sel:BYTE_3 src1_sel:DWORD
	v_mul_lo_u32 v16, v16, s99
	v_xor_b32_e32 v16, v16, v22
                                        ; implicit-def: $vgpr17
	s_and_saveexec_b64 s[14:15], s[0:1]
	s_xor_b64 s[0:1], exec, s[14:15]
	s_cbranch_execnz .LBB2_688
; %bb.604:                              ;   in Loop: Header=BB2_591 Depth=2
	s_andn2_saveexec_b64 s[14:15], s[0:1]
	s_cbranch_execnz .LBB2_689
.LBB2_605:                              ;   in Loop: Header=BB2_591 Depth=2
	s_or_b64 exec, exec, s[14:15]
	s_and_saveexec_b64 s[0:1], s[12:13]
	s_cbranch_execz .LBB2_607
.LBB2_606:                              ;   in Loop: Header=BB2_591 Depth=2
	global_load_ubyte v8, v[8:9], off offset:4
	s_waitcnt vmcnt(0)
	v_xor_b32_e32 v8, v17, v8
	v_mul_lo_u32 v16, v8, s99
.LBB2_607:                              ;   in Loop: Header=BB2_591 Depth=2
	s_or_b64 exec, exec, s[0:1]
                                        ; implicit-def: $vgpr18
                                        ; implicit-def: $vgpr17
                                        ; implicit-def: $vgpr8_vgpr9
.LBB2_608:                              ;   in Loop: Header=BB2_591 Depth=2
	s_andn2_saveexec_b64 s[10:11], s[10:11]
	s_cbranch_execz .LBB2_677
; %bb.609:                              ;   in Loop: Header=BB2_591 Depth=2
	v_cmp_lt_i32_e64 s[0:1], 5, v15
	s_mov_b64 s[12:13], 0
                                        ; implicit-def: $vgpr16
	s_and_saveexec_b64 s[14:15], s[0:1]
	s_xor_b64 s[0:1], exec, s[14:15]
	s_cbranch_execnz .LBB2_690
; %bb.610:                              ;   in Loop: Header=BB2_591 Depth=2
	s_andn2_saveexec_b64 s[14:15], s[0:1]
	s_cbranch_execnz .LBB2_691
.LBB2_611:                              ;   in Loop: Header=BB2_591 Depth=2
	s_or_b64 exec, exec, s[14:15]
	v_mov_b32_e32 v8, 0
	s_and_saveexec_b64 s[0:1], s[12:13]
	s_cbranch_execz .LBB2_613
.LBB2_612:                              ;   in Loop: Header=BB2_591 Depth=2
	global_load_ubyte v6, v[6:7], off
	s_waitcnt vmcnt(0)
	v_or_b32_e32 v8, v16, v6
.LBB2_613:                              ;   in Loop: Header=BB2_591 Depth=2
	s_or_b64 exec, exec, s[0:1]
	v_lshrrev_b32_e32 v6, v18, v13
	v_lshlrev_b32_e32 v7, v17, v8
	v_bitop3_b32 v6, v7, v14, v6 bitop3:0x36
	v_mul_lo_u32 v16, v6, s99
	s_or_b64 exec, exec, s[10:11]
.LBB2_614:                              ;   in Loop: Header=BB2_591 Depth=2
	s_andn2_saveexec_b64 s[2:3], s[2:3]
	s_cbranch_execz .LBB2_622
.LBB2_615:                              ;   in Loop: Header=BB2_591 Depth=2
	s_mov_b64 s[10:11], 0
	v_mov_b32_e32 v8, v11
	v_mov_b64_e32 v[6:7], v[2:3]
	v_mov_b32_e32 v16, v10
.LBB2_616:                              ;   Parent Loop BB2_13 Depth=1
                                        ;     Parent Loop BB2_591 Depth=2
                                        ; =>    This Inner Loop Header: Depth=3
	global_load_dword v9, v[6:7], off
	v_add_u32_e32 v8, -4, v8
	v_mul_lo_u32 v13, v16, s99
	v_cmp_gt_u32_e64 s[0:1], 8, v8
	v_lshl_add_u64 v[6:7], v[6:7], 0, 4
	s_or_b64 s[10:11], s[0:1], s[10:11]
	s_waitcnt vmcnt(0)
	v_mul_lo_u32 v9, v9, s99
	v_xor_b32_sdwa v9, v9, v9 dst_sel:DWORD dst_unused:UNUSED_PAD src0_sel:BYTE_3 src1_sel:DWORD
	v_mul_lo_u32 v9, v9, s99
	v_xor_b32_e32 v16, v9, v13
	s_andn2_b64 exec, exec, s[10:11]
	s_cbranch_execnz .LBB2_616
; %bb.617:                              ;   in Loop: Header=BB2_591 Depth=2
	s_or_b64 exec, exec, s[10:11]
	v_cmp_lt_i32_e64 s[0:1], 5, v8
	s_mov_b64 s[10:11], 0
                                        ; implicit-def: $vgpr9
	s_and_saveexec_b64 s[12:13], s[0:1]
	s_xor_b64 s[12:13], exec, s[12:13]
	s_cbranch_execnz .LBB2_678
; %bb.618:                              ;   in Loop: Header=BB2_591 Depth=2
	s_andn2_saveexec_b64 s[12:13], s[12:13]
	s_cbranch_execnz .LBB2_681
.LBB2_619:                              ;   in Loop: Header=BB2_591 Depth=2
	s_or_b64 exec, exec, s[12:13]
	s_and_saveexec_b64 s[0:1], s[10:11]
	s_cbranch_execz .LBB2_621
.LBB2_620:                              ;   in Loop: Header=BB2_591 Depth=2
	global_load_ubyte v6, v[6:7], off
	s_waitcnt vmcnt(0)
	v_xor_b32_e32 v6, v9, v6
	v_mul_lo_u32 v16, v6, s99
.LBB2_621:                              ;   in Loop: Header=BB2_591 Depth=2
	s_or_b64 exec, exec, s[0:1]
.LBB2_622:                              ;   in Loop: Header=BB2_591 Depth=2
	s_or_b64 exec, exec, s[2:3]
	v_lshrrev_b32_e32 v6, 13, v16
	v_xor_b32_e32 v6, v6, v16
	v_mul_lo_u32 v6, v6, s99
	v_lshrrev_b32_e32 v7, 15, v6
	v_xor_b32_e32 v6, v7, v6
	v_mul_hi_u32 v7, v6, v103
	v_mul_lo_u32 v7, v7, s62
	v_sub_u32_e32 v6, v6, v7
	v_subrev_u32_e32 v7, s62, v6
	v_cmp_le_u32_e64 s[0:1], s62, v6
	s_mov_b64 s[12:13], -1
	s_nop 0
	v_cndmask_b32_e64 v6, v6, v7, s[0:1]
	v_subrev_u32_e32 v7, s62, v6
	v_cmp_le_u32_e64 s[0:1], s62, v6
	s_nop 1
	v_cndmask_b32_e64 v8, v6, v7, s[0:1]
	v_mad_u64_u32 v[6:7], s[0:1], v8, 24, v[70:71]
	global_load_dword v9, v[6:7], off offset:8
	s_waitcnt vmcnt(0)
	v_cmp_ne_u32_e64 s[0:1], -1, v9
	s_and_saveexec_b64 s[2:3], s[0:1]
	s_cbranch_execz .LBB2_634
; %bb.623:                              ;   in Loop: Header=BB2_591 Depth=2
	s_mov_b64 s[10:11], 0
                                        ; implicit-def: $sgpr12_sgpr13
	s_branch .LBB2_625
.LBB2_624:                              ;   in Loop: Header=BB2_625 Depth=3
	s_or_b64 exec, exec, s[18:19]
	s_xor_b64 s[0:1], s[14:15], -1
	s_and_b64 s[14:15], exec, s[16:17]
	s_or_b64 s[10:11], s[14:15], s[10:11]
	s_andn2_b64 s[12:13], s[12:13], exec
	s_and_b64 s[0:1], s[0:1], exec
	s_or_b64 s[12:13], s[12:13], s[0:1]
	s_andn2_b64 exec, exec, s[10:11]
	s_cbranch_execz .LBB2_633
.LBB2_625:                              ;   Parent Loop BB2_13 Depth=1
                                        ;     Parent Loop BB2_591 Depth=2
                                        ; =>    This Loop Header: Depth=3
                                        ;         Child Loop BB2_627 Depth 4
	global_load_dwordx2 v[6:7], v[6:7], off
	s_mov_b64 s[16:17], 0
	s_mov_b64 s[22:23], 0
                                        ; implicit-def: $sgpr14_sgpr15
                                        ; implicit-def: $sgpr20_sgpr21
                                        ; implicit-def: $sgpr18_sgpr19
	s_branch .LBB2_627
.LBB2_626:                              ;   in Loop: Header=BB2_627 Depth=4
	s_or_b64 exec, exec, s[24:25]
	s_xor_b64 s[0:1], s[18:19], -1
	s_and_b64 s[24:25], exec, s[20:21]
	s_or_b64 s[16:17], s[24:25], s[16:17]
	s_andn2_b64 s[14:15], s[14:15], exec
	s_and_b64 s[0:1], s[0:1], exec
	s_or_b64 s[14:15], s[14:15], s[0:1]
	s_andn2_b64 exec, exec, s[16:17]
	s_cbranch_execz .LBB2_629
.LBB2_627:                              ;   Parent Loop BB2_13 Depth=1
                                        ;     Parent Loop BB2_591 Depth=2
                                        ;       Parent Loop BB2_625 Depth=3
                                        ; =>      This Inner Loop Header: Depth=4
	s_waitcnt vmcnt(0)
	v_lshl_add_u64 v[14:15], v[6:7], 0, s[22:23]
	flat_load_ubyte v13, v[14:15]
	v_lshl_add_u64 v[14:15], v[2:3], 0, s[22:23]
	global_load_ubyte v14, v[14:15], off
	s_or_b64 s[18:19], s[18:19], exec
	s_or_b64 s[20:21], s[20:21], exec
	s_waitcnt vmcnt(0) lgkmcnt(0)
	v_cmp_eq_u16_e64 s[0:1], v13, v14
	s_and_saveexec_b64 s[24:25], s[0:1]
	s_cbranch_execz .LBB2_626
; %bb.628:                              ;   in Loop: Header=BB2_627 Depth=4
	s_add_u32 s22, s22, 1
	v_cmp_eq_u32_e64 s[0:1], s22, v4
	s_addc_u32 s23, s23, 0
	s_andn2_b64 s[20:21], s[20:21], exec
	s_and_b64 s[0:1], s[0:1], exec
	s_andn2_b64 s[18:19], s[18:19], exec
	s_or_b64 s[20:21], s[20:21], s[0:1]
	s_branch .LBB2_626
.LBB2_629:                              ;   in Loop: Header=BB2_625 Depth=3
	s_or_b64 exec, exec, s[16:17]
	s_mov_b64 s[16:17], -1
	s_mov_b64 s[0:1], -1
	s_and_saveexec_b64 s[18:19], s[14:15]
	s_xor_b64 s[14:15], exec, s[18:19]
; %bb.630:                              ;   in Loop: Header=BB2_625 Depth=3
	v_cmp_ne_u32_e64 s[0:1], v9, v4
	s_orn2_b64 s[0:1], s[0:1], exec
; %bb.631:                              ;   in Loop: Header=BB2_625 Depth=3
	s_or_b64 exec, exec, s[14:15]
	s_mov_b64 s[14:15], -1
                                        ; implicit-def: $vgpr6_vgpr7
                                        ; implicit-def: $vgpr9
	s_and_saveexec_b64 s[18:19], s[0:1]
	s_cbranch_execz .LBB2_624
; %bb.632:                              ;   in Loop: Header=BB2_625 Depth=3
	v_add_u32_e32 v6, 1, v8
	v_cmp_ne_u32_e64 s[0:1], s62, v6
	s_xor_b64 s[14:15], exec, -1
	s_nop 0
	v_cndmask_b32_e64 v8, 0, v6, s[0:1]
	v_mad_u64_u32 v[6:7], s[0:1], v8, 24, v[70:71]
	global_load_dword v9, v[6:7], off offset:8
	s_waitcnt vmcnt(0)
	v_cmp_eq_u32_e64 s[0:1], -1, v9
	s_orn2_b64 s[16:17], s[0:1], exec
	s_branch .LBB2_624
.LBB2_633:                              ;   in Loop: Header=BB2_591 Depth=2
	s_or_b64 exec, exec, s[10:11]
	s_orn2_b64 s[12:13], s[12:13], exec
.LBB2_634:                              ;   in Loop: Header=BB2_591 Depth=2
	s_or_b64 exec, exec, s[2:3]
	s_mov_b64 s[0:1], 0
	v_mov_b32_e32 v15, 0x52
	s_and_saveexec_b64 s[10:11], s[12:13]
	s_cbranch_execz .LBB2_590
; %bb.635:                              ;   in Loop: Header=BB2_591 Depth=2
	global_store_dwordx3 v[6:7], v[2:4], off
	global_store_byte v[6:7], v59, off offset:16
                                        ; implicit-def: $vgpr16
	s_and_saveexec_b64 s[0:1], vcc
	s_xor_b64 s[0:1], exec, s[0:1]
	s_cbranch_execz .LBB2_658
; %bb.636:                              ;   in Loop: Header=BB2_591 Depth=2
	v_cmp_gt_i32_e32 vcc, 3, v46
	v_mov_b32_e32 v8, 0
	s_and_saveexec_b64 s[2:3], vcc
	s_cbranch_execz .LBB2_640
; %bb.637:                              ;   in Loop: Header=BB2_591 Depth=2
	v_cmp_ne_u32_e32 vcc, 2, v46
	v_mov_b32_e32 v6, 0
	s_and_saveexec_b64 s[12:13], vcc
	s_cbranch_execz .LBB2_639
; %bb.638:                              ;   in Loop: Header=BB2_591 Depth=2
	global_load_ubyte v6, v[2:3], off offset:2
	s_waitcnt vmcnt(0)
	v_lshlrev_b32_e32 v6, 16, v6
.LBB2_639:                              ;   in Loop: Header=BB2_591 Depth=2
	s_or_b64 exec, exec, s[12:13]
	global_load_ubyte v7, v[2:3], off offset:1
	s_waitcnt vmcnt(0)
	v_lshl_or_b32 v8, v7, 8, v6
.LBB2_640:                              ;   in Loop: Header=BB2_591 Depth=2
	s_or_b64 exec, exec, s[2:3]
	global_load_ubyte v9, v[2:3], off
	v_lshlrev_b32_e32 v18, 3, v46
	v_sub_u32_e32 v16, 4, v46
	v_mov_b32_e32 v17, v47
	v_add_u32_e32 v15, v4, v46
	s_mov_b64 s[2:3], 0
	v_lshl_add_u64 v[6:7], v[2:3], 0, v[16:17]
	v_lshlrev_b32_e32 v17, 3, v16
	v_mov_b32_e32 v14, v10
	s_waitcnt vmcnt(0)
	v_or_b32_e32 v8, v8, v9
	v_lshlrev_b32_e32 v8, v18, v8
.LBB2_641:                              ;   Parent Loop BB2_13 Depth=1
                                        ;     Parent Loop BB2_591 Depth=2
                                        ; =>    This Inner Loop Header: Depth=3
	global_load_dword v13, v[6:7], off
	v_lshrrev_b32_e32 v8, v18, v8
	v_mul_lo_u32 v9, v14, s99
	v_add_u32_e32 v15, -4, v15
	v_cmp_gt_u32_e32 vcc, 8, v15
	v_lshl_add_u64 v[6:7], v[6:7], 0, 4
	s_or_b64 s[2:3], vcc, s[2:3]
	s_waitcnt vmcnt(0)
	v_lshl_or_b32 v14, v13, v17, v8
	v_mul_lo_u32 v14, v14, s99
	v_xor_b32_sdwa v14, v14, v14 dst_sel:DWORD dst_unused:UNUSED_PAD src0_sel:BYTE_3 src1_sel:DWORD
	v_mul_lo_u32 v14, v14, s99
	v_mov_b32_e32 v8, v13
	v_xor_b32_e32 v14, v14, v9
	s_andn2_b64 exec, exec, s[2:3]
	s_cbranch_execnz .LBB2_641
; %bb.642:                              ;   in Loop: Header=BB2_591 Depth=2
	s_or_b64 exec, exec, s[2:3]
	v_add_u32_e32 v19, -4, v15
	v_lshl_add_u64 v[8:9], v[6:7], 0, -4
	v_cmp_ge_u32_e32 vcc, v19, v46
                                        ; implicit-def: $vgpr16
	s_and_saveexec_b64 s[2:3], vcc
	s_xor_b64 s[2:3], exec, s[2:3]
	s_cbranch_execz .LBB2_652
; %bb.643:                              ;   in Loop: Header=BB2_591 Depth=2
	v_cmp_lt_i32_e32 vcc, 2, v46
	s_mov_b64 s[12:13], 0
                                        ; implicit-def: $vgpr16
	s_and_saveexec_b64 s[14:15], vcc
	s_xor_b64 s[14:15], exec, s[14:15]
	s_cbranch_execnz .LBB2_697
; %bb.644:                              ;   in Loop: Header=BB2_591 Depth=2
	s_andn2_saveexec_b64 s[14:15], s[14:15]
	s_cbranch_execnz .LBB2_698
.LBB2_645:                              ;   in Loop: Header=BB2_591 Depth=2
	s_or_b64 exec, exec, s[14:15]
	v_mov_b32_e32 v20, 0
	s_and_saveexec_b64 s[14:15], s[12:13]
	s_cbranch_execz .LBB2_647
.LBB2_646:                              ;   in Loop: Header=BB2_591 Depth=2
	global_load_ubyte v20, v[8:9], off offset:5
	s_waitcnt vmcnt(0)
	v_lshl_or_b32 v20, v20, 8, v16
.LBB2_647:                              ;   in Loop: Header=BB2_591 Depth=2
	s_or_b64 exec, exec, s[14:15]
	global_load_ubyte v16, v[6:7], off
	v_lshrrev_b32_e32 v21, v18, v13
	v_mul_lo_u32 v22, v14, s99
	v_sub_u32_e32 v18, v19, v46
	v_lshl_add_u64 v[8:9], v[8:9], 0, v[46:47]
	v_cmp_lt_i32_e32 vcc, 1, v18
	s_mov_b64 s[12:13], 0
	s_waitcnt vmcnt(0)
	v_or_b32_e32 v16, v20, v16
	v_lshl_or_b32 v16, v16, v17, v21
	v_mul_lo_u32 v16, v16, s99
	v_xor_b32_sdwa v16, v16, v16 dst_sel:DWORD dst_unused:UNUSED_PAD src0_sel:BYTE_3 src1_sel:DWORD
	v_mul_lo_u32 v16, v16, s99
	v_xor_b32_e32 v16, v16, v22
                                        ; implicit-def: $vgpr17
	s_and_saveexec_b64 s[14:15], vcc
	s_xor_b64 s[14:15], exec, s[14:15]
	s_cbranch_execnz .LBB2_699
; %bb.648:                              ;   in Loop: Header=BB2_591 Depth=2
	s_andn2_saveexec_b64 s[14:15], s[14:15]
	s_cbranch_execnz .LBB2_702
.LBB2_649:                              ;   in Loop: Header=BB2_591 Depth=2
	s_or_b64 exec, exec, s[14:15]
	s_and_saveexec_b64 s[14:15], s[12:13]
	s_cbranch_execz .LBB2_651
.LBB2_650:                              ;   in Loop: Header=BB2_591 Depth=2
	global_load_ubyte v8, v[8:9], off offset:4
	s_waitcnt vmcnt(0)
	v_xor_b32_e32 v8, v17, v8
	v_mul_lo_u32 v16, v8, s99
.LBB2_651:                              ;   in Loop: Header=BB2_591 Depth=2
	s_or_b64 exec, exec, s[14:15]
                                        ; implicit-def: $vgpr18
                                        ; implicit-def: $vgpr17
                                        ; implicit-def: $vgpr8_vgpr9
.LBB2_652:                              ;   in Loop: Header=BB2_591 Depth=2
	s_andn2_saveexec_b64 s[2:3], s[2:3]
	s_cbranch_execz .LBB2_692
; %bb.653:                              ;   in Loop: Header=BB2_591 Depth=2
	v_cmp_lt_i32_e32 vcc, 5, v15
	s_mov_b64 s[12:13], 0
                                        ; implicit-def: $vgpr16
	s_and_saveexec_b64 s[14:15], vcc
	s_xor_b64 s[14:15], exec, s[14:15]
	s_cbranch_execnz .LBB2_703
; %bb.654:                              ;   in Loop: Header=BB2_591 Depth=2
	s_andn2_saveexec_b64 s[14:15], s[14:15]
	s_cbranch_execnz .LBB2_704
.LBB2_655:                              ;   in Loop: Header=BB2_591 Depth=2
	s_or_b64 exec, exec, s[14:15]
	v_mov_b32_e32 v8, 0
	s_and_saveexec_b64 s[14:15], s[12:13]
	s_cbranch_execz .LBB2_657
.LBB2_656:                              ;   in Loop: Header=BB2_591 Depth=2
	global_load_ubyte v6, v[6:7], off
	s_waitcnt vmcnt(0)
	v_or_b32_e32 v8, v16, v6
.LBB2_657:                              ;   in Loop: Header=BB2_591 Depth=2
	s_or_b64 exec, exec, s[14:15]
	v_lshrrev_b32_e32 v6, v18, v13
	v_lshlrev_b32_e32 v7, v17, v8
	v_bitop3_b32 v6, v7, v14, v6 bitop3:0x36
	v_mul_lo_u32 v16, v6, s99
	s_or_b64 exec, exec, s[2:3]
.LBB2_658:                              ;   in Loop: Header=BB2_591 Depth=2
	s_andn2_saveexec_b64 s[0:1], s[0:1]
	s_cbranch_execz .LBB2_666
.LBB2_659:                              ;   in Loop: Header=BB2_591 Depth=2
	s_mov_b64 s[2:3], 0
	v_mov_b32_e32 v8, v11
	v_mov_b64_e32 v[6:7], v[2:3]
	v_mov_b32_e32 v16, v10
.LBB2_660:                              ;   Parent Loop BB2_13 Depth=1
                                        ;     Parent Loop BB2_591 Depth=2
                                        ; =>    This Inner Loop Header: Depth=3
	global_load_dword v9, v[6:7], off
	v_add_u32_e32 v8, -4, v8
	v_mul_lo_u32 v13, v16, s99
	v_cmp_gt_u32_e32 vcc, 8, v8
	v_lshl_add_u64 v[6:7], v[6:7], 0, 4
	s_or_b64 s[2:3], vcc, s[2:3]
	s_waitcnt vmcnt(0)
	v_mul_lo_u32 v9, v9, s99
	v_xor_b32_sdwa v9, v9, v9 dst_sel:DWORD dst_unused:UNUSED_PAD src0_sel:BYTE_3 src1_sel:DWORD
	v_mul_lo_u32 v9, v9, s99
	v_xor_b32_e32 v16, v9, v13
	s_andn2_b64 exec, exec, s[2:3]
	s_cbranch_execnz .LBB2_660
; %bb.661:                              ;   in Loop: Header=BB2_591 Depth=2
	s_or_b64 exec, exec, s[2:3]
	v_cmp_lt_i32_e32 vcc, 5, v8
	s_mov_b64 s[2:3], 0
                                        ; implicit-def: $vgpr9
	s_and_saveexec_b64 s[12:13], vcc
	s_xor_b64 s[12:13], exec, s[12:13]
	s_cbranch_execnz .LBB2_693
; %bb.662:                              ;   in Loop: Header=BB2_591 Depth=2
	s_andn2_saveexec_b64 s[12:13], s[12:13]
	s_cbranch_execnz .LBB2_696
.LBB2_663:                              ;   in Loop: Header=BB2_591 Depth=2
	s_or_b64 exec, exec, s[12:13]
	s_and_saveexec_b64 s[12:13], s[2:3]
	s_cbranch_execz .LBB2_665
.LBB2_664:                              ;   in Loop: Header=BB2_591 Depth=2
	global_load_ubyte v6, v[6:7], off
	s_waitcnt vmcnt(0)
	v_xor_b32_e32 v6, v9, v6
	v_mul_lo_u32 v16, v6, s99
.LBB2_665:                              ;   in Loop: Header=BB2_591 Depth=2
	s_or_b64 exec, exec, s[12:13]
.LBB2_666:                              ;   in Loop: Header=BB2_591 Depth=2
	s_or_b64 exec, exec, s[0:1]
	v_lshrrev_b32_e32 v6, 13, v16
	v_xor_b32_e32 v6, v6, v16
	v_mul_lo_u32 v6, v6, s99
	v_lshrrev_b32_e32 v7, 15, v6
	v_xor_b32_e32 v6, v7, v6
	v_mul_hi_u32 v7, v6, v90
	v_mul_lo_u32 v7, v7, v42
	v_sub_u32_e32 v6, v6, v7
	v_sub_u32_e32 v7, v6, v42
	v_cmp_ge_u32_e32 vcc, v6, v42
	v_mov_b32_e32 v15, 0x58
	s_nop 0
	v_cndmask_b32_e32 v6, v6, v7, vcc
	v_sub_u32_e32 v7, v6, v42
	v_cmp_ge_u32_e32 vcc, v6, v42
	s_nop 1
	v_cndmask_b32_e32 v13, v6, v7, vcc
	v_mad_u64_u32 v[8:9], s[0:1], v13, 56, v[40:41]
	global_load_dword v14, v[8:9], off offset:8
	s_mov_b64 s[0:1], 0
	s_waitcnt vmcnt(0)
	v_cmp_ne_u32_e32 vcc, -1, v14
	s_and_saveexec_b64 s[12:13], vcc
	s_cbranch_execz .LBB2_589
; %bb.667:                              ;   in Loop: Header=BB2_591 Depth=2
	s_mov_b64 s[2:3], 0
                                        ; implicit-def: $sgpr0_sgpr1
                                        ; implicit-def: $sgpr14_sgpr15
	s_branch .LBB2_669
.LBB2_668:                              ;   in Loop: Header=BB2_669 Depth=3
	s_or_b64 exec, exec, s[16:17]
	s_and_b64 s[16:17], exec, s[18:19]
	s_or_b64 s[2:3], s[16:17], s[2:3]
	s_andn2_b64 s[0:1], s[0:1], exec
	s_and_b64 s[16:17], s[14:15], exec
	s_or_b64 s[0:1], s[0:1], s[16:17]
	s_andn2_b64 exec, exec, s[2:3]
	s_cbranch_execz .LBB2_682
.LBB2_669:                              ;   Parent Loop BB2_13 Depth=1
                                        ;     Parent Loop BB2_591 Depth=2
                                        ; =>    This Loop Header: Depth=3
                                        ;         Child Loop BB2_671 Depth 4
	v_mov_b64_e32 v[6:7], v[8:9]
	global_load_dwordx2 v[8:9], v[8:9], off
	s_mov_b64 s[18:19], 0
	s_mov_b64 s[24:25], 0
                                        ; implicit-def: $sgpr16_sgpr17
                                        ; implicit-def: $sgpr22_sgpr23
                                        ; implicit-def: $sgpr20_sgpr21
	s_branch .LBB2_671
.LBB2_670:                              ;   in Loop: Header=BB2_671 Depth=4
	s_or_b64 exec, exec, s[26:27]
	s_xor_b64 s[26:27], s[20:21], -1
	s_and_b64 s[30:31], exec, s[22:23]
	s_or_b64 s[18:19], s[30:31], s[18:19]
	s_andn2_b64 s[16:17], s[16:17], exec
	s_and_b64 s[26:27], s[26:27], exec
	s_or_b64 s[16:17], s[16:17], s[26:27]
	s_andn2_b64 exec, exec, s[18:19]
	s_cbranch_execz .LBB2_673
.LBB2_671:                              ;   Parent Loop BB2_13 Depth=1
                                        ;     Parent Loop BB2_591 Depth=2
                                        ;       Parent Loop BB2_669 Depth=3
                                        ; =>      This Inner Loop Header: Depth=4
	s_waitcnt vmcnt(0)
	v_lshl_add_u64 v[16:17], v[8:9], 0, s[24:25]
	flat_load_ubyte v15, v[16:17]
	v_lshl_add_u64 v[16:17], v[2:3], 0, s[24:25]
	global_load_ubyte v16, v[16:17], off
	s_or_b64 s[20:21], s[20:21], exec
	s_or_b64 s[22:23], s[22:23], exec
	s_waitcnt vmcnt(0) lgkmcnt(0)
	v_cmp_eq_u16_e32 vcc, v15, v16
	s_and_saveexec_b64 s[26:27], vcc
	s_cbranch_execz .LBB2_670
; %bb.672:                              ;   in Loop: Header=BB2_671 Depth=4
	s_add_u32 s24, s24, 1
	v_cmp_eq_u32_e32 vcc, s24, v4
	s_addc_u32 s25, s25, 0
	s_andn2_b64 s[22:23], s[22:23], exec
	s_and_b64 s[30:31], vcc, exec
	s_andn2_b64 s[20:21], s[20:21], exec
	s_or_b64 s[22:23], s[22:23], s[30:31]
	s_branch .LBB2_670
.LBB2_673:                              ;   in Loop: Header=BB2_669 Depth=3
	s_or_b64 exec, exec, s[18:19]
	s_mov_b64 s[18:19], -1
	s_mov_b64 s[20:21], -1
	s_and_saveexec_b64 s[22:23], s[16:17]
	s_xor_b64 s[16:17], exec, s[22:23]
; %bb.674:                              ;   in Loop: Header=BB2_669 Depth=3
	v_cmp_ne_u32_e32 vcc, v14, v4
	s_orn2_b64 s[20:21], vcc, exec
; %bb.675:                              ;   in Loop: Header=BB2_669 Depth=3
	s_or_b64 exec, exec, s[16:17]
	s_or_b64 s[14:15], s[14:15], exec
                                        ; implicit-def: $vgpr8_vgpr9
                                        ; implicit-def: $vgpr14
	s_and_saveexec_b64 s[16:17], s[20:21]
	s_cbranch_execz .LBB2_668
; %bb.676:                              ;   in Loop: Header=BB2_669 Depth=3
	v_add_u32_e32 v8, 1, v13
	v_cmp_ne_u32_e32 vcc, v8, v42
	s_andn2_b64 s[14:15], s[14:15], exec
	s_nop 0
	v_cndmask_b32_e32 v13, 0, v8, vcc
	v_mad_u64_u32 v[8:9], s[18:19], v13, 56, v[40:41]
	global_load_dword v14, v[8:9], off offset:8
	s_waitcnt vmcnt(0)
	v_cmp_eq_u32_e32 vcc, -1, v14
	s_orn2_b64 s[18:19], vcc, exec
	s_branch .LBB2_668
.LBB2_677:                              ;   in Loop: Header=BB2_591 Depth=2
	s_or_b64 exec, exec, s[10:11]
	s_andn2_saveexec_b64 s[2:3], s[2:3]
	s_cbranch_execnz .LBB2_615
	s_branch .LBB2_622
.LBB2_678:                              ;   in Loop: Header=BB2_591 Depth=2
	v_cmp_lt_i32_e64 s[0:1], 6, v8
	v_mov_b32_e32 v9, v16
	s_and_saveexec_b64 s[10:11], s[0:1]
	s_cbranch_execz .LBB2_680
; %bb.679:                              ;   in Loop: Header=BB2_591 Depth=2
	global_load_ubyte v9, v[6:7], off offset:2
	s_waitcnt vmcnt(0)
	v_lshlrev_b32_e32 v9, 16, v9
	v_xor_b32_e32 v9, v9, v16
.LBB2_680:                              ;   in Loop: Header=BB2_591 Depth=2
	s_or_b64 exec, exec, s[10:11]
	global_load_ubyte v13, v[6:7], off offset:1
	s_mov_b64 s[10:11], exec
	s_waitcnt vmcnt(0)
	v_lshlrev_b32_e32 v13, 8, v13
	v_xor_b32_e32 v9, v13, v9
	s_andn2_saveexec_b64 s[12:13], s[12:13]
	s_cbranch_execz .LBB2_619
.LBB2_681:                              ;   in Loop: Header=BB2_591 Depth=2
	v_cmp_eq_u32_e64 s[0:1], 5, v8
	s_andn2_b64 s[10:11], s[10:11], exec
	s_and_b64 s[0:1], s[0:1], exec
	s_or_b64 s[10:11], s[10:11], s[0:1]
	v_mov_b32_e32 v9, v16
	s_or_b64 exec, exec, s[12:13]
	s_and_saveexec_b64 s[0:1], s[10:11]
	s_cbranch_execnz .LBB2_620
	s_branch .LBB2_621
.LBB2_682:                              ;   in Loop: Header=BB2_591 Depth=2
	s_or_b64 exec, exec, s[2:3]
	s_mov_b64 s[2:3], 0
	v_mov_b32_e32 v15, 0x58
	s_and_saveexec_b64 s[14:15], s[0:1]
	s_xor_b64 s[14:15], exec, s[14:15]
	s_cbranch_execz .LBB2_588
; %bb.683:                              ;   in Loop: Header=BB2_591 Depth=2
	global_load_ubyte v15, v[6:7], off offset:48
	s_mov_b64 s[16:17], 0
	s_waitcnt vmcnt(0)
	v_cmp_ne_u16_e32 vcc, s92, v15
	v_cmp_ne_u16_e64 s[0:1], s64, v15
	v_cmp_lt_i16_e64 s[2:3], s65, v15
	s_and_saveexec_b64 s[18:19], s[2:3]
	s_xor_b64 s[2:3], exec, s[18:19]
	s_cbranch_execnz .LBB2_705
; %bb.684:                              ;   in Loop: Header=BB2_591 Depth=2
	s_andn2_saveexec_b64 s[2:3], s[2:3]
	s_cbranch_execnz .LBB2_706
.LBB2_685:                              ;   in Loop: Header=BB2_591 Depth=2
	s_or_b64 exec, exec, s[2:3]
	s_and_saveexec_b64 s[18:19], s[16:17]
	s_cbranch_execz .LBB2_587
	s_branch .LBB2_707
.LBB2_686:                              ;   in Loop: Header=BB2_591 Depth=2
	global_load_ubyte v16, v[8:9], off offset:6
	s_mov_b64 s[12:13], exec
	s_waitcnt vmcnt(0)
	v_lshlrev_b32_e32 v16, 16, v16
	s_andn2_saveexec_b64 s[14:15], s[0:1]
	s_cbranch_execz .LBB2_601
.LBB2_687:                              ;   in Loop: Header=BB2_591 Depth=2
	v_cmp_eq_u32_e64 s[0:1], 2, v46
	s_andn2_b64 s[12:13], s[12:13], exec
	s_and_b64 s[0:1], s[0:1], exec
	v_mov_b32_e32 v16, 0
	s_or_b64 s[12:13], s[12:13], s[0:1]
	s_or_b64 exec, exec, s[14:15]
	v_mov_b32_e32 v20, 0
	s_and_saveexec_b64 s[0:1], s[12:13]
	s_cbranch_execnz .LBB2_602
	s_branch .LBB2_603
.LBB2_688:                              ;   in Loop: Header=BB2_591 Depth=2
	global_load_ubyte v17, v[8:9], off offset:5
	s_mov_b64 s[12:13], exec
                                        ; implicit-def: $vgpr18
	s_waitcnt vmcnt(0)
	v_lshlrev_b32_e32 v17, 8, v17
	v_xor_b32_e32 v17, v17, v16
	s_andn2_saveexec_b64 s[14:15], s[0:1]
	s_cbranch_execz .LBB2_605
.LBB2_689:                              ;   in Loop: Header=BB2_591 Depth=2
	v_cmp_eq_u32_e64 s[0:1], 1, v18
	s_andn2_b64 s[12:13], s[12:13], exec
	s_and_b64 s[0:1], s[0:1], exec
	s_or_b64 s[12:13], s[12:13], s[0:1]
	v_mov_b32_e32 v17, v16
	s_or_b64 exec, exec, s[14:15]
	s_and_saveexec_b64 s[0:1], s[12:13]
	s_cbranch_execnz .LBB2_606
	s_branch .LBB2_607
.LBB2_690:                              ;   in Loop: Header=BB2_591 Depth=2
	global_load_ubyte v8, v[8:9], off offset:5
	s_mov_b64 s[12:13], exec
	s_waitcnt vmcnt(0)
	v_lshlrev_b32_e32 v16, 8, v8
	s_andn2_saveexec_b64 s[14:15], s[0:1]
	s_cbranch_execz .LBB2_611
.LBB2_691:                              ;   in Loop: Header=BB2_591 Depth=2
	v_cmp_eq_u32_e64 s[0:1], 5, v15
	s_andn2_b64 s[12:13], s[12:13], exec
	s_and_b64 s[0:1], s[0:1], exec
	v_mov_b32_e32 v16, 0
	s_or_b64 s[12:13], s[12:13], s[0:1]
	s_or_b64 exec, exec, s[14:15]
	v_mov_b32_e32 v8, 0
	s_and_saveexec_b64 s[0:1], s[12:13]
	s_cbranch_execnz .LBB2_612
	s_branch .LBB2_613
.LBB2_692:                              ;   in Loop: Header=BB2_591 Depth=2
	s_or_b64 exec, exec, s[2:3]
	s_andn2_saveexec_b64 s[0:1], s[0:1]
	s_cbranch_execnz .LBB2_659
	s_branch .LBB2_666
.LBB2_693:                              ;   in Loop: Header=BB2_591 Depth=2
	v_cmp_lt_i32_e32 vcc, 6, v8
	v_mov_b32_e32 v9, v16
	s_and_saveexec_b64 s[2:3], vcc
	s_cbranch_execz .LBB2_695
; %bb.694:                              ;   in Loop: Header=BB2_591 Depth=2
	global_load_ubyte v9, v[6:7], off offset:2
	s_waitcnt vmcnt(0)
	v_lshlrev_b32_e32 v9, 16, v9
	v_xor_b32_e32 v9, v9, v16
.LBB2_695:                              ;   in Loop: Header=BB2_591 Depth=2
	s_or_b64 exec, exec, s[2:3]
	global_load_ubyte v13, v[6:7], off offset:1
	s_mov_b64 s[2:3], exec
	s_waitcnt vmcnt(0)
	v_lshlrev_b32_e32 v13, 8, v13
	v_xor_b32_e32 v9, v13, v9
	s_andn2_saveexec_b64 s[12:13], s[12:13]
	s_cbranch_execz .LBB2_663
.LBB2_696:                              ;   in Loop: Header=BB2_591 Depth=2
	v_cmp_eq_u32_e32 vcc, 5, v8
	s_andn2_b64 s[2:3], s[2:3], exec
	s_and_b64 s[14:15], vcc, exec
	s_or_b64 s[2:3], s[2:3], s[14:15]
	v_mov_b32_e32 v9, v16
	s_or_b64 exec, exec, s[12:13]
	s_and_saveexec_b64 s[12:13], s[2:3]
	s_cbranch_execnz .LBB2_664
	s_branch .LBB2_665
.LBB2_697:                              ;   in Loop: Header=BB2_591 Depth=2
	global_load_ubyte v16, v[8:9], off offset:6
	s_mov_b64 s[12:13], exec
	s_waitcnt vmcnt(0)
	v_lshlrev_b32_e32 v16, 16, v16
	s_andn2_saveexec_b64 s[14:15], s[14:15]
	s_cbranch_execz .LBB2_645
.LBB2_698:                              ;   in Loop: Header=BB2_591 Depth=2
	v_cmp_eq_u32_e32 vcc, 2, v46
	s_andn2_b64 s[12:13], s[12:13], exec
	s_and_b64 s[16:17], vcc, exec
	v_mov_b32_e32 v16, 0
	s_or_b64 s[12:13], s[12:13], s[16:17]
	s_or_b64 exec, exec, s[14:15]
	v_mov_b32_e32 v20, 0
	s_and_saveexec_b64 s[14:15], s[12:13]
	s_cbranch_execnz .LBB2_646
	s_branch .LBB2_647
.LBB2_699:                              ;   in Loop: Header=BB2_591 Depth=2
	v_cmp_eq_u32_e32 vcc, 2, v18
                                        ; implicit-def: $vgpr17
	s_and_saveexec_b64 s[16:17], vcc
	s_cbranch_execz .LBB2_701
; %bb.700:                              ;   in Loop: Header=BB2_591 Depth=2
	global_load_ubyte v17, v[8:9], off offset:5
	s_mov_b64 s[12:13], exec
	s_waitcnt vmcnt(0)
	v_lshlrev_b32_e32 v17, 8, v17
	v_xor_b32_e32 v17, v17, v16
.LBB2_701:                              ;   in Loop: Header=BB2_591 Depth=2
	s_or_b64 exec, exec, s[16:17]
	s_and_b64 s[12:13], s[12:13], exec
                                        ; implicit-def: $vgpr18
	s_andn2_saveexec_b64 s[14:15], s[14:15]
	s_cbranch_execz .LBB2_649
.LBB2_702:                              ;   in Loop: Header=BB2_591 Depth=2
	v_cmp_eq_u32_e32 vcc, 1, v18
	s_andn2_b64 s[12:13], s[12:13], exec
	s_and_b64 s[16:17], vcc, exec
	s_or_b64 s[12:13], s[12:13], s[16:17]
	v_mov_b32_e32 v17, v16
	s_or_b64 exec, exec, s[14:15]
	s_and_saveexec_b64 s[14:15], s[12:13]
	s_cbranch_execnz .LBB2_650
	s_branch .LBB2_651
.LBB2_703:                              ;   in Loop: Header=BB2_591 Depth=2
	global_load_ubyte v8, v[8:9], off offset:5
	s_mov_b64 s[12:13], exec
	s_waitcnt vmcnt(0)
	v_lshlrev_b32_e32 v16, 8, v8
	s_andn2_saveexec_b64 s[14:15], s[14:15]
	s_cbranch_execz .LBB2_655
.LBB2_704:                              ;   in Loop: Header=BB2_591 Depth=2
	v_cmp_eq_u32_e32 vcc, 5, v15
	s_andn2_b64 s[12:13], s[12:13], exec
	s_and_b64 s[16:17], vcc, exec
	v_mov_b32_e32 v16, 0
	s_or_b64 s[12:13], s[12:13], s[16:17]
	s_or_b64 exec, exec, s[14:15]
	v_mov_b32_e32 v8, 0
	s_and_saveexec_b64 s[14:15], s[12:13]
	s_cbranch_execnz .LBB2_656
	s_branch .LBB2_657
.LBB2_705:                              ;   in Loop: Header=BB2_591 Depth=2
	s_and_b64 s[16:17], s[0:1], exec
	s_andn2_saveexec_b64 s[2:3], s[2:3]
	s_cbranch_execz .LBB2_685
.LBB2_706:                              ;   in Loop: Header=BB2_591 Depth=2
	s_andn2_b64 s[16:17], s[16:17], exec
	s_and_b64 s[18:19], vcc, exec
	s_or_b64 s[16:17], s[16:17], s[18:19]
	s_or_b64 exec, exec, s[2:3]
	s_and_saveexec_b64 s[18:19], s[16:17]
	s_cbranch_execz .LBB2_587
.LBB2_707:                              ;   in Loop: Header=BB2_591 Depth=2
	v_lshl_add_u64 v[6:7], v[2:3], 0, 1
	v_lshl_add_u64 v[2:3], v[2:3], 0, v[0:1]
	v_cmp_ne_u16_e64 s[2:3], 0, v15
	global_store_byte v[2:3], v15, off
	v_mov_b32_e32 v15, v12
	v_addc_co_u32_e64 v5, s[2:3], 0, v5, s[2:3]
	v_mov_b64_e32 v[2:3], v[6:7]
	s_branch .LBB2_587
.LBB2_708:                              ;   in Loop: Header=BB2_13 Depth=1
	s_or_b64 exec, exec, s[8:9]
	v_cmp_eq_u16_sdwa s[0:1], v15, s64 src0_sel:BYTE_0 src1_sel:DWORD
	v_cmp_gt_i32_e32 vcc, v5, v112
	s_and_saveexec_b64 s[2:3], vcc
	s_cbranch_execnz .LBB2_710
	s_branch .LBB2_714
.LBB2_709:                              ;   in Loop: Header=BB2_13 Depth=1
	v_mov_b32_e32 v5, 0
	s_mov_b64 s[0:1], -1
	v_cmp_gt_i32_e32 vcc, v5, v112
	s_and_saveexec_b64 s[2:3], vcc
	s_cbranch_execz .LBB2_714
.LBB2_710:                              ;   in Loop: Header=BB2_13 Depth=1
	v_cmp_lt_i32_e32 vcc, 0, v5
	s_and_saveexec_b64 s[8:9], vcc
	s_cbranch_execz .LBB2_713
; %bb.711:                              ;   in Loop: Header=BB2_13 Depth=1
	v_lshl_add_u64 v[0:1], v[76:77], 0, v[0:1]
	s_mov_b64 s[10:11], 0
	s_mov_b64 s[12:13], 0
.LBB2_712:                              ;   Parent Loop BB2_13 Depth=1
                                        ; =>  This Inner Loop Header: Depth=2
	v_lshl_add_u64 v[2:3], v[0:1], 0, s[12:13]
	global_load_ubyte v6, v[2:3], off
	v_lshl_add_u64 v[2:3], v[72:73], 0, s[12:13]
	s_add_u32 s12, s12, 1
	s_addc_u32 s13, s13, 0
	v_cmp_eq_u32_e32 vcc, s12, v5
	s_or_b64 s[10:11], vcc, s[10:11]
	s_waitcnt vmcnt(0)
	global_store_byte v[2:3], v6, off
	s_andn2_b64 exec, exec, s[10:11]
	s_cbranch_execnz .LBB2_712
.LBB2_713:                              ;   in Loop: Header=BB2_13 Depth=1
	s_or_b64 exec, exec, s[8:9]
	v_mov_b32_e32 v112, v5
.LBB2_714:                              ;   in Loop: Header=BB2_13 Depth=1
	s_or_b64 exec, exec, s[2:3]
	s_xor_b64 s[2:3], s[0:1], -1
	s_mov_b64 s[0:1], 0
	s_and_saveexec_b64 s[8:9], s[2:3]
	s_xor_b64 s[2:3], exec, s[8:9]
; %bb.715:                              ;   in Loop: Header=BB2_13 Depth=1
	v_cmp_ne_u32_e32 vcc, -8, v110
	s_and_b64 s[0:1], vcc, exec
                                        ; implicit-def: $vgpr110
; %bb.716:                              ;   in Loop: Header=BB2_13 Depth=1
	s_or_saveexec_b64 s[2:3], s[2:3]
	v_mov_b32_e32 v3, -8
	v_mov_b32_e32 v1, 8
	s_xor_b64 exec, exec, s[2:3]
; %bb.717:                              ;   in Loop: Header=BB2_13 Depth=1
	v_cmp_ne_u32_e32 vcc, 8, v110
	s_andn2_b64 s[0:1], s[0:1], exec
	s_and_b64 s[8:9], vcc, exec
	v_mov_b32_e32 v3, 8
	v_mov_b32_e32 v1, -8
	s_or_b64 s[0:1], s[0:1], s[8:9]
; %bb.718:                              ;   in Loop: Header=BB2_13 Depth=1
	s_or_b64 exec, exec, s[2:3]
	v_mov_b32_e32 v2, 11
	v_mov_b32_e32 v0, 0
	v_mov_b32_e32 v110, v3
	s_and_saveexec_b64 s[2:3], s[0:1]
; %bb.719:                              ;   in Loop: Header=BB2_13 Depth=1
	v_mov_b32_e32 v2, 0
	v_mov_b32_e32 v0, v111
	;; [unrolled: 1-line block ×3, first 2 shown]
; %bb.720:                              ;   in Loop: Header=BB2_13 Depth=1
	s_or_b64 exec, exec, s[2:3]
	v_cmp_gt_i32_e32 vcc, 11, v2
	s_mov_b64 s[0:1], -1
	s_and_saveexec_b64 s[2:3], vcc
; %bb.721:                              ;   in Loop: Header=BB2_13 Depth=1
	v_cmp_eq_u32_e32 vcc, 0, v2
	s_orn2_b64 s[0:1], vcc, exec
; %bb.722:                              ;   in Loop: Header=BB2_13 Depth=1
	s_or_b64 exec, exec, s[2:3]
	s_orn2_b64 s[0:1], s[0:1], exec
	v_mov_b32_e32 v111, v0
.LBB2_723:                              ;   in Loop: Header=BB2_13 Depth=1
	s_or_b64 exec, exec, s[6:7]
	s_and_saveexec_b64 s[2:3], s[0:1]
	s_cbranch_execz .LBB2_12
; %bb.724:                              ;   in Loop: Header=BB2_13 Depth=1
	v_lshlrev_b32_e32 v0, 2, v105
	v_and_b32_e32 v0, 0x100, v0
	ds_bpermute_b32 v111, v0, v111
	s_mov_b64 s[0:1], -1
	s_waitcnt lgkmcnt(0)
	v_cmp_ne_u32_e32 vcc, 0, v111
	s_and_saveexec_b64 s[4:5], vcc
	s_cbranch_execz .LBB2_11
; %bb.725:                              ;   in Loop: Header=BB2_13 Depth=1
	ds_bpermute_b32 v110, v0, v110
	s_waitcnt lgkmcnt(0)
	v_add_u32_e32 v4, v110, v4
	v_cmp_gt_i32_e32 vcc, 21, v4
	v_cmp_gt_i32_e64 s[0:1], v4, v91
	s_or_b64 s[0:1], vcc, s[0:1]
	s_orn2_b64 s[0:1], s[0:1], exec
	s_branch .LBB2_11
.LBB2_726:
	s_or_b64 exec, exec, s[68:69]
	v_readlane_b32 s18, v114, 2
	v_max_i32_e32 v4, 0, v112
	v_readlane_b32 s19, v114, 3
.LBB2_727:
	v_readlane_b32 s0, v114, 0
	v_readlane_b32 s1, v114, 1
	s_or_b64 exec, exec, s[0:1]
	v_cmp_eq_u32_e32 vcc, 0, v78
	s_and_b64 exec, exec, vcc
	s_cbranch_execz .LBB2_729
; %bb.728:
	global_store_dword v64, v4, s[18:19]
.LBB2_729:
	s_endpgm
	.section	.rodata,"a",@progbits
	.p2align	6, 0x0
	.amdhsa_kernel _Z22iterative_walks_kernelILi64EEvPjS0_PcS1_S1_S0_S0_PdP6loc_htS0_P11loc_ht_boolijS0_llliijS1_S1_S0_i
		.amdhsa_group_segment_fixed_size 16384
		.amdhsa_private_segment_fixed_size 80
		.amdhsa_kernarg_size 432
		.amdhsa_user_sgpr_count 4
		.amdhsa_user_sgpr_dispatch_ptr 1
		.amdhsa_user_sgpr_queue_ptr 0
		.amdhsa_user_sgpr_kernarg_segment_ptr 1
		.amdhsa_user_sgpr_dispatch_id 0
		.amdhsa_user_sgpr_kernarg_preload_length 0
		.amdhsa_user_sgpr_kernarg_preload_offset 0
		.amdhsa_user_sgpr_private_segment_size 0
		.amdhsa_uses_dynamic_stack 0
		.amdhsa_enable_private_segment 1
		.amdhsa_system_sgpr_workgroup_id_x 1
		.amdhsa_system_sgpr_workgroup_id_y 0
		.amdhsa_system_sgpr_workgroup_id_z 0
		.amdhsa_system_sgpr_workgroup_info 0
		.amdhsa_system_vgpr_workitem_id 2
		.amdhsa_next_free_vgpr 115
		.amdhsa_next_free_sgpr 100
		.amdhsa_accum_offset 116
		.amdhsa_reserve_vcc 1
		.amdhsa_float_round_mode_32 0
		.amdhsa_float_round_mode_16_64 0
		.amdhsa_float_denorm_mode_32 3
		.amdhsa_float_denorm_mode_16_64 3
		.amdhsa_dx10_clamp 1
		.amdhsa_ieee_mode 1
		.amdhsa_fp16_overflow 0
		.amdhsa_tg_split 0
		.amdhsa_exception_fp_ieee_invalid_op 0
		.amdhsa_exception_fp_denorm_src 0
		.amdhsa_exception_fp_ieee_div_zero 0
		.amdhsa_exception_fp_ieee_overflow 0
		.amdhsa_exception_fp_ieee_underflow 0
		.amdhsa_exception_fp_ieee_inexact 0
		.amdhsa_exception_int_div_zero 0
	.end_amdhsa_kernel
	.section	.text._Z22iterative_walks_kernelILi64EEvPjS0_PcS1_S1_S0_S0_PdP6loc_htS0_P11loc_ht_boolijS0_llliijS1_S1_S0_i,"axG",@progbits,_Z22iterative_walks_kernelILi64EEvPjS0_PcS1_S1_S0_S0_PdP6loc_htS0_P11loc_ht_boolijS0_llliijS1_S1_S0_i,comdat
.Lfunc_end2:
	.size	_Z22iterative_walks_kernelILi64EEvPjS0_PcS1_S1_S0_S0_PdP6loc_htS0_P11loc_ht_boolijS0_llliijS1_S1_S0_i, .Lfunc_end2-_Z22iterative_walks_kernelILi64EEvPjS0_PcS1_S1_S0_S0_PdP6loc_htS0_P11loc_ht_boolijS0_llliijS1_S1_S0_i
                                        ; -- End function
	.set _Z22iterative_walks_kernelILi64EEvPjS0_PcS1_S1_S0_S0_PdP6loc_htS0_P11loc_ht_boolijS0_llliijS1_S1_S0_i.num_vgpr, max(115, .L_Z13ht_get_atomicP6loc_ht9cstr_typej.num_vgpr)
	.set _Z22iterative_walks_kernelILi64EEvPjS0_PcS1_S1_S0_S0_PdP6loc_htS0_P11loc_ht_boolijS0_llliijS1_S1_S0_i.num_agpr, max(0, .L_Z13ht_get_atomicP6loc_ht9cstr_typej.num_agpr)
	.set _Z22iterative_walks_kernelILi64EEvPjS0_PcS1_S1_S0_S0_PdP6loc_htS0_P11loc_ht_boolijS0_llliijS1_S1_S0_i.numbered_sgpr, max(100, .L_Z13ht_get_atomicP6loc_ht9cstr_typej.numbered_sgpr)
	.set _Z22iterative_walks_kernelILi64EEvPjS0_PcS1_S1_S0_S0_PdP6loc_htS0_P11loc_ht_boolijS0_llliijS1_S1_S0_i.num_named_barrier, max(0, .L_Z13ht_get_atomicP6loc_ht9cstr_typej.num_named_barrier)
	.set _Z22iterative_walks_kernelILi64EEvPjS0_PcS1_S1_S0_S0_PdP6loc_htS0_P11loc_ht_boolijS0_llliijS1_S1_S0_i.private_seg_size, 80+max(.L_Z13ht_get_atomicP6loc_ht9cstr_typej.private_seg_size)
	.set _Z22iterative_walks_kernelILi64EEvPjS0_PcS1_S1_S0_S0_PdP6loc_htS0_P11loc_ht_boolijS0_llliijS1_S1_S0_i.uses_vcc, or(1, .L_Z13ht_get_atomicP6loc_ht9cstr_typej.uses_vcc)
	.set _Z22iterative_walks_kernelILi64EEvPjS0_PcS1_S1_S0_S0_PdP6loc_htS0_P11loc_ht_boolijS0_llliijS1_S1_S0_i.uses_flat_scratch, or(0, .L_Z13ht_get_atomicP6loc_ht9cstr_typej.uses_flat_scratch)
	.set _Z22iterative_walks_kernelILi64EEvPjS0_PcS1_S1_S0_S0_PdP6loc_htS0_P11loc_ht_boolijS0_llliijS1_S1_S0_i.has_dyn_sized_stack, or(0, .L_Z13ht_get_atomicP6loc_ht9cstr_typej.has_dyn_sized_stack)
	.set _Z22iterative_walks_kernelILi64EEvPjS0_PcS1_S1_S0_S0_PdP6loc_htS0_P11loc_ht_boolijS0_llliijS1_S1_S0_i.has_recursion, or(0, .L_Z13ht_get_atomicP6loc_ht9cstr_typej.has_recursion)
	.set _Z22iterative_walks_kernelILi64EEvPjS0_PcS1_S1_S0_S0_PdP6loc_htS0_P11loc_ht_boolijS0_llliijS1_S1_S0_i.has_indirect_call, or(0, .L_Z13ht_get_atomicP6loc_ht9cstr_typej.has_indirect_call)
	.section	.AMDGPU.csdata,"",@progbits
; Kernel info:
; codeLenInByte = 20304
; TotalNumSgprs: 106
; NumVgprs: 115
; NumAgprs: 0
; TotalNumVgprs: 115
; ScratchSize: 80
; MemoryBound: 0
; FloatMode: 240
; IeeeMode: 1
; LDSByteSize: 16384 bytes/workgroup (compile time only)
; SGPRBlocks: 13
; VGPRBlocks: 14
; NumSGPRsForWavesPerEU: 106
; NumVGPRsForWavesPerEU: 115
; AccumOffset: 116
; Occupancy: 4
; WaveLimiterHint : 1
; COMPUTE_PGM_RSRC2:SCRATCH_EN: 1
; COMPUTE_PGM_RSRC2:USER_SGPR: 4
; COMPUTE_PGM_RSRC2:TRAP_HANDLER: 0
; COMPUTE_PGM_RSRC2:TGID_X_EN: 1
; COMPUTE_PGM_RSRC2:TGID_Y_EN: 0
; COMPUTE_PGM_RSRC2:TGID_Z_EN: 0
; COMPUTE_PGM_RSRC2:TIDIG_COMP_CNT: 2
; COMPUTE_PGM_RSRC3_GFX90A:ACCUM_OFFSET: 28
; COMPUTE_PGM_RSRC3_GFX90A:TG_SPLIT: 0
	.text
	.p2alignl 6, 3212836864
	.fill 256, 4, 3212836864
	.section	.AMDGPU.gpr_maximums,"",@progbits
	.set amdgpu.max_num_vgpr, 55
	.set amdgpu.max_num_agpr, 0
	.set amdgpu.max_num_sgpr, 41
	.text
	.type	.str.2,@object                  ; @.str.2
	.section	.rodata.str1.1,"aMS",@progbits,1
.str.2:
	.asciz	"*****end reached, hashtable full*****\n"
	.size	.str.2, 39

	.type	.str.3,@object                  ; @.str.3
.str.3:
	.asciz	"*********ASSERTION FAILURE IN COUNT_MERS****"
	.size	.str.3, 45

	.type	.str.4,@object                  ; @.str.4
.str.4:
	.asciz	"******* ASSERTION FAILED IN sort_merbase************"
	.size	.str.4, 53

	.type	__hip_cuid_9cb156de60547c3,@object ; @__hip_cuid_9cb156de60547c3
	.section	.bss,"aw",@nobits
	.globl	__hip_cuid_9cb156de60547c3
__hip_cuid_9cb156de60547c3:
	.byte	0                               ; 0x0
	.size	__hip_cuid_9cb156de60547c3, 1

	.ident	"AMD clang version 22.0.0git (https://github.com/RadeonOpenCompute/llvm-project roc-7.2.4 26084 f58b06dce1f9c15707c5f808fd002e18c2accf7e)"
	.section	".note.GNU-stack","",@progbits
	.addrsig
	.addrsig_sym __hip_cuid_9cb156de60547c3
	.amdgpu_metadata
---
amdhsa.kernels:
  - .agpr_count:     0
    .args:
      - .address_space:  global
        .offset:         0
        .size:           8
        .value_kind:     global_buffer
      - .address_space:  global
        .offset:         8
        .size:           8
        .value_kind:     global_buffer
      - .address_space:  global
        .offset:         16
        .size:           8
        .value_kind:     global_buffer
      - .address_space:  global
        .offset:         24
        .size:           8
        .value_kind:     global_buffer
      - .address_space:  global
        .offset:         32
        .size:           8
        .value_kind:     global_buffer
      - .address_space:  global
        .offset:         40
        .size:           8
        .value_kind:     global_buffer
      - .address_space:  global
        .offset:         48
        .size:           8
        .value_kind:     global_buffer
      - .address_space:  global
        .offset:         56
        .size:           8
        .value_kind:     global_buffer
      - .address_space:  global
        .offset:         64
        .size:           8
        .value_kind:     global_buffer
      - .address_space:  global
        .offset:         72
        .size:           8
        .value_kind:     global_buffer
      - .address_space:  global
        .offset:         80
        .size:           8
        .value_kind:     global_buffer
      - .offset:         88
        .size:           4
        .value_kind:     by_value
      - .offset:         92
        .size:           4
        .value_kind:     by_value
      - .address_space:  global
        .offset:         96
        .size:           8
        .value_kind:     global_buffer
      - .offset:         104
        .size:           8
        .value_kind:     by_value
      - .offset:         112
        .size:           8
        .value_kind:     by_value
      - .offset:         120
        .size:           8
        .value_kind:     by_value
      - .offset:         128
        .size:           4
        .value_kind:     by_value
      - .offset:         132
        .size:           4
        .value_kind:     by_value
      - .offset:         136
        .size:           4
        .value_kind:     by_value
      - .address_space:  global
        .offset:         144
        .size:           8
        .value_kind:     global_buffer
      - .address_space:  global
        .offset:         152
        .size:           8
        .value_kind:     global_buffer
      - .address_space:  global
        .offset:         160
        .size:           8
        .value_kind:     global_buffer
      - .offset:         168
        .size:           4
        .value_kind:     by_value
      - .offset:         176
        .size:           4
        .value_kind:     hidden_block_count_x
      - .offset:         180
        .size:           4
        .value_kind:     hidden_block_count_y
      - .offset:         184
        .size:           4
        .value_kind:     hidden_block_count_z
      - .offset:         188
        .size:           2
        .value_kind:     hidden_group_size_x
      - .offset:         190
        .size:           2
        .value_kind:     hidden_group_size_y
      - .offset:         192
        .size:           2
        .value_kind:     hidden_group_size_z
      - .offset:         194
        .size:           2
        .value_kind:     hidden_remainder_x
      - .offset:         196
        .size:           2
        .value_kind:     hidden_remainder_y
      - .offset:         198
        .size:           2
        .value_kind:     hidden_remainder_z
      - .offset:         216
        .size:           8
        .value_kind:     hidden_global_offset_x
      - .offset:         224
        .size:           8
        .value_kind:     hidden_global_offset_y
      - .offset:         232
        .size:           8
        .value_kind:     hidden_global_offset_z
      - .offset:         240
        .size:           2
        .value_kind:     hidden_grid_dims
      - .offset:         256
        .size:           8
        .value_kind:     hidden_hostcall_buffer
    .group_segment_fixed_size: 16384
    .kernarg_segment_align: 8
    .kernarg_segment_size: 432
    .language:       OpenCL C
    .language_version:
      - 2
      - 0
    .max_flat_workgroup_size: 1024
    .name:           _Z22iterative_walks_kernelILi32EEvPjS0_PcS1_S1_S0_S0_PdP6loc_htS0_P11loc_ht_boolijS0_llliijS1_S1_S0_i
    .private_segment_fixed_size: 80
    .sgpr_count:     106
    .sgpr_spill_count: 4
    .symbol:         _Z22iterative_walks_kernelILi32EEvPjS0_PcS1_S1_S0_S0_PdP6loc_htS0_P11loc_ht_boolijS0_llliijS1_S1_S0_i.kd
    .uniform_work_group_size: 1
    .uses_dynamic_stack: false
    .vgpr_count:     115
    .vgpr_spill_count: 0
    .wavefront_size: 64
  - .agpr_count:     0
    .args:
      - .address_space:  global
        .offset:         0
        .size:           8
        .value_kind:     global_buffer
      - .address_space:  global
        .offset:         8
        .size:           8
        .value_kind:     global_buffer
      - .address_space:  global
        .offset:         16
        .size:           8
        .value_kind:     global_buffer
      - .address_space:  global
        .offset:         24
        .size:           8
        .value_kind:     global_buffer
      - .address_space:  global
        .offset:         32
        .size:           8
        .value_kind:     global_buffer
      - .address_space:  global
        .offset:         40
        .size:           8
        .value_kind:     global_buffer
      - .address_space:  global
        .offset:         48
        .size:           8
        .value_kind:     global_buffer
      - .address_space:  global
        .offset:         56
        .size:           8
        .value_kind:     global_buffer
      - .address_space:  global
        .offset:         64
        .size:           8
        .value_kind:     global_buffer
      - .address_space:  global
        .offset:         72
        .size:           8
        .value_kind:     global_buffer
      - .address_space:  global
        .offset:         80
        .size:           8
        .value_kind:     global_buffer
      - .offset:         88
        .size:           4
        .value_kind:     by_value
      - .offset:         92
        .size:           4
        .value_kind:     by_value
      - .address_space:  global
        .offset:         96
        .size:           8
        .value_kind:     global_buffer
      - .offset:         104
        .size:           8
        .value_kind:     by_value
      - .offset:         112
        .size:           8
        .value_kind:     by_value
      - .offset:         120
        .size:           8
        .value_kind:     by_value
      - .offset:         128
        .size:           4
        .value_kind:     by_value
      - .offset:         132
        .size:           4
        .value_kind:     by_value
      - .offset:         136
        .size:           4
        .value_kind:     by_value
      - .address_space:  global
        .offset:         144
        .size:           8
        .value_kind:     global_buffer
      - .address_space:  global
        .offset:         152
        .size:           8
        .value_kind:     global_buffer
      - .address_space:  global
        .offset:         160
        .size:           8
        .value_kind:     global_buffer
      - .offset:         168
        .size:           4
        .value_kind:     by_value
      - .offset:         176
        .size:           4
        .value_kind:     hidden_block_count_x
      - .offset:         180
        .size:           4
        .value_kind:     hidden_block_count_y
      - .offset:         184
        .size:           4
        .value_kind:     hidden_block_count_z
      - .offset:         188
        .size:           2
        .value_kind:     hidden_group_size_x
      - .offset:         190
        .size:           2
        .value_kind:     hidden_group_size_y
      - .offset:         192
        .size:           2
        .value_kind:     hidden_group_size_z
      - .offset:         194
        .size:           2
        .value_kind:     hidden_remainder_x
      - .offset:         196
        .size:           2
        .value_kind:     hidden_remainder_y
      - .offset:         198
        .size:           2
        .value_kind:     hidden_remainder_z
      - .offset:         216
        .size:           8
        .value_kind:     hidden_global_offset_x
      - .offset:         224
        .size:           8
        .value_kind:     hidden_global_offset_y
      - .offset:         232
        .size:           8
        .value_kind:     hidden_global_offset_z
      - .offset:         240
        .size:           2
        .value_kind:     hidden_grid_dims
      - .offset:         256
        .size:           8
        .value_kind:     hidden_hostcall_buffer
    .group_segment_fixed_size: 16384
    .kernarg_segment_align: 8
    .kernarg_segment_size: 432
    .language:       OpenCL C
    .language_version:
      - 2
      - 0
    .max_flat_workgroup_size: 1024
    .name:           _Z22iterative_walks_kernelILi64EEvPjS0_PcS1_S1_S0_S0_PdP6loc_htS0_P11loc_ht_boolijS0_llliijS1_S1_S0_i
    .private_segment_fixed_size: 80
    .sgpr_count:     106
    .sgpr_spill_count: 4
    .symbol:         _Z22iterative_walks_kernelILi64EEvPjS0_PcS1_S1_S0_S0_PdP6loc_htS0_P11loc_ht_boolijS0_llliijS1_S1_S0_i.kd
    .uniform_work_group_size: 1
    .uses_dynamic_stack: false
    .vgpr_count:     115
    .vgpr_spill_count: 0
    .wavefront_size: 64
amdhsa.target:   amdgcn-amd-amdhsa--gfx950
amdhsa.version:
  - 1
  - 2
...

	.end_amdgpu_metadata
